;; amdgpu-corpus repo=ROCm/rocFFT kind=compiled arch=gfx906 opt=O3
	.text
	.amdgcn_target "amdgcn-amd-amdhsa--gfx906"
	.amdhsa_code_object_version 6
	.protected	bluestein_single_fwd_len495_dim1_dp_op_CI_CI ; -- Begin function bluestein_single_fwd_len495_dim1_dp_op_CI_CI
	.globl	bluestein_single_fwd_len495_dim1_dp_op_CI_CI
	.p2align	8
	.type	bluestein_single_fwd_len495_dim1_dp_op_CI_CI,@function
bluestein_single_fwd_len495_dim1_dp_op_CI_CI: ; @bluestein_single_fwd_len495_dim1_dp_op_CI_CI
; %bb.0:
	s_load_dwordx4 s[0:3], s[4:5], 0x28
	v_mul_u32_u24_e32 v1, 0x4a8, v0
	v_add_u32_sdwa v112, s6, v1 dst_sel:DWORD dst_unused:UNUSED_PAD src0_sel:DWORD src1_sel:WORD_1
	v_mov_b32_e32 v113, 0
	s_waitcnt lgkmcnt(0)
	v_cmp_gt_u64_e32 vcc, s[0:1], v[112:113]
	s_and_saveexec_b64 s[0:1], vcc
	s_cbranch_execz .LBB0_23
; %bb.1:
	s_load_dwordx2 s[14:15], s[4:5], 0x0
	s_load_dwordx2 s[12:13], s[4:5], 0x38
	v_mov_b32_e32 v2, 55
	v_mul_lo_u16_sdwa v1, v1, v2 dst_sel:DWORD dst_unused:UNUSED_PAD src0_sel:WORD_1 src1_sel:DWORD
	v_sub_u16_e32 v174, v0, v1
	v_cmp_gt_u16_e64 s[0:1], 45, v174
	v_lshlrev_b32_e32 v173, 4, v174
	s_and_saveexec_b64 s[6:7], s[0:1]
	s_cbranch_execz .LBB0_3
; %bb.2:
	s_load_dwordx2 s[8:9], s[4:5], 0x18
	s_waitcnt lgkmcnt(0)
	s_load_dwordx4 s[8:11], s[8:9], 0x0
	s_waitcnt lgkmcnt(0)
	v_mad_u64_u32 v[0:1], s[16:17], s10, v112, 0
	v_mad_u64_u32 v[2:3], s[16:17], s8, v174, 0
	;; [unrolled: 1-line block ×4, first 2 shown]
	v_mov_b32_e32 v1, v4
	v_lshlrev_b64 v[0:1], 4, v[0:1]
	v_mov_b32_e32 v3, v5
	v_mov_b32_e32 v6, s3
	v_lshlrev_b64 v[2:3], 4, v[2:3]
	v_add_co_u32_e32 v0, vcc, s2, v0
	v_addc_co_u32_e32 v1, vcc, v6, v1, vcc
	v_add_co_u32_e32 v16, vcc, v0, v2
	v_addc_co_u32_e32 v17, vcc, v1, v3, vcc
	v_mov_b32_e32 v0, s15
	v_add_co_u32_e32 v54, vcc, s14, v173
	s_mul_i32 s2, s9, 0x2d0
	s_mul_hi_u32 s3, s8, 0x2d0
	v_addc_co_u32_e32 v55, vcc, 0, v0, vcc
	s_add_i32 s2, s3, s2
	s_mul_i32 s3, s8, 0x2d0
	v_mov_b32_e32 v0, s2
	v_add_co_u32_e32 v18, vcc, s3, v16
	v_addc_co_u32_e32 v19, vcc, v17, v0, vcc
	global_load_dwordx4 v[0:3], v[16:17], off
	global_load_dwordx4 v[4:7], v[18:19], off
	global_load_dwordx4 v[8:11], v173, s[14:15]
	global_load_dwordx4 v[12:15], v173, s[14:15] offset:720
	v_mov_b32_e32 v16, s2
	v_add_co_u32_e32 v32, vcc, s3, v18
	v_addc_co_u32_e32 v33, vcc, v19, v16, vcc
	v_add_co_u32_e32 v34, vcc, s3, v32
	v_addc_co_u32_e32 v35, vcc, v33, v16, vcc
	global_load_dwordx4 v[16:19], v[32:33], off
	global_load_dwordx4 v[20:23], v[34:35], off
	global_load_dwordx4 v[24:27], v173, s[14:15] offset:1440
	global_load_dwordx4 v[28:31], v173, s[14:15] offset:2160
	v_mov_b32_e32 v32, s2
	v_add_co_u32_e32 v36, vcc, s3, v34
	v_addc_co_u32_e32 v37, vcc, v35, v32, vcc
	v_mov_b32_e32 v38, s2
	v_add_co_u32_e32 v48, vcc, s3, v36
	v_addc_co_u32_e32 v49, vcc, v37, v38, vcc
	;; [unrolled: 3-line block ×3, first 2 shown]
	s_movk_i32 s8, 0x1000
	v_add_co_u32_e32 v88, vcc, s8, v54
	v_addc_co_u32_e32 v89, vcc, 0, v55, vcc
	v_mov_b32_e32 v54, s2
	v_add_co_u32_e32 v64, vcc, s3, v52
	v_addc_co_u32_e32 v65, vcc, v53, v54, vcc
	global_load_dwordx4 v[32:35], v[36:37], off
	v_mov_b32_e32 v66, s2
	v_add_co_u32_e32 v68, vcc, s3, v64
	global_load_dwordx4 v[36:39], v[48:49], off
	global_load_dwordx4 v[40:43], v173, s[14:15] offset:2880
	global_load_dwordx4 v[44:47], v173, s[14:15] offset:3600
	v_addc_co_u32_e32 v69, vcc, v65, v66, vcc
	global_load_dwordx4 v[48:51], v[52:53], off
	v_mov_b32_e32 v70, s2
	v_add_co_u32_e32 v80, vcc, s3, v68
	global_load_dwordx4 v[52:55], v[64:65], off
	global_load_dwordx4 v[56:59], v[88:89], off offset:224
	global_load_dwordx4 v[60:63], v[88:89], off offset:944
	v_addc_co_u32_e32 v81, vcc, v69, v70, vcc
	global_load_dwordx4 v[64:67], v[68:69], off
	v_mov_b32_e32 v82, s2
	v_add_co_u32_e32 v90, vcc, s3, v80
	global_load_dwordx4 v[68:71], v[80:81], off
	global_load_dwordx4 v[72:75], v[88:89], off offset:1664
	global_load_dwordx4 v[76:79], v[88:89], off offset:2384
	v_addc_co_u32_e32 v91, vcc, v81, v82, vcc
	global_load_dwordx4 v[80:83], v[90:91], off
	global_load_dwordx4 v[84:87], v[88:89], off offset:3104
	s_waitcnt vmcnt(19)
	v_mul_f64 v[88:89], v[2:3], v[10:11]
	v_mul_f64 v[10:11], v[0:1], v[10:11]
	s_waitcnt vmcnt(18)
	v_mul_f64 v[90:91], v[6:7], v[14:15]
	v_mul_f64 v[14:15], v[4:5], v[14:15]
	v_fma_f64 v[0:1], v[0:1], v[8:9], v[88:89]
	v_fma_f64 v[2:3], v[2:3], v[8:9], -v[10:11]
	s_waitcnt vmcnt(15)
	v_mul_f64 v[92:93], v[18:19], v[26:27]
	v_mul_f64 v[26:27], v[16:17], v[26:27]
	v_fma_f64 v[4:5], v[4:5], v[12:13], v[90:91]
	v_fma_f64 v[6:7], v[6:7], v[12:13], -v[14:15]
	v_fma_f64 v[8:9], v[16:17], v[24:25], v[92:93]
	v_fma_f64 v[10:11], v[18:19], v[24:25], -v[26:27]
	ds_write_b128 v173, v[0:3]
	ds_write_b128 v173, v[4:7] offset:720
	ds_write_b128 v173, v[8:11] offset:1440
	s_waitcnt vmcnt(14)
	v_mul_f64 v[0:1], v[22:23], v[30:31]
	v_mul_f64 v[2:3], v[20:21], v[30:31]
	v_fma_f64 v[0:1], v[20:21], v[28:29], v[0:1]
	v_fma_f64 v[2:3], v[22:23], v[28:29], -v[2:3]
	s_waitcnt vmcnt(11)
	v_mul_f64 v[4:5], v[34:35], v[42:43]
	v_mul_f64 v[6:7], v[32:33], v[42:43]
	s_waitcnt vmcnt(10)
	v_mul_f64 v[8:9], v[38:39], v[46:47]
	v_mul_f64 v[10:11], v[36:37], v[46:47]
	;; [unrolled: 3-line block ×4, first 2 shown]
	v_fma_f64 v[4:5], v[32:33], v[40:41], v[4:5]
	v_fma_f64 v[6:7], v[34:35], v[40:41], -v[6:7]
	v_fma_f64 v[8:9], v[36:37], v[44:45], v[8:9]
	s_waitcnt vmcnt(3)
	v_mul_f64 v[20:21], v[66:67], v[74:75]
	v_mul_f64 v[22:23], v[64:65], v[74:75]
	s_waitcnt vmcnt(2)
	v_mul_f64 v[24:25], v[70:71], v[78:79]
	v_mul_f64 v[26:27], v[68:69], v[78:79]
	;; [unrolled: 3-line block ×3, first 2 shown]
	v_fma_f64 v[10:11], v[38:39], v[44:45], -v[10:11]
	v_fma_f64 v[12:13], v[48:49], v[56:57], v[12:13]
	v_fma_f64 v[14:15], v[50:51], v[56:57], -v[14:15]
	v_fma_f64 v[16:17], v[52:53], v[60:61], v[16:17]
	;; [unrolled: 2-line block ×5, first 2 shown]
	v_fma_f64 v[30:31], v[82:83], v[84:85], -v[30:31]
	ds_write_b128 v173, v[0:3] offset:2160
	ds_write_b128 v173, v[4:7] offset:2880
	;; [unrolled: 1-line block ×8, first 2 shown]
.LBB0_3:
	s_or_b64 exec, exec, s[6:7]
	s_load_dwordx2 s[2:3], s[4:5], 0x20
	s_load_dwordx2 s[8:9], s[4:5], 0x8
	s_waitcnt lgkmcnt(0)
	; wave barrier
	s_waitcnt lgkmcnt(0)
                                        ; implicit-def: $vgpr4_vgpr5
                                        ; implicit-def: $vgpr8_vgpr9
                                        ; implicit-def: $vgpr12_vgpr13
                                        ; implicit-def: $vgpr16_vgpr17
                                        ; implicit-def: $vgpr20_vgpr21
                                        ; implicit-def: $vgpr24_vgpr25
                                        ; implicit-def: $vgpr28_vgpr29
                                        ; implicit-def: $vgpr32_vgpr33
                                        ; implicit-def: $vgpr36_vgpr37
                                        ; implicit-def: $vgpr40_vgpr41
                                        ; implicit-def: $vgpr44_vgpr45
	s_and_saveexec_b64 s[4:5], s[0:1]
	s_cbranch_execz .LBB0_5
; %bb.4:
	ds_read_b128 v[4:7], v173
	ds_read_b128 v[8:11], v173 offset:720
	ds_read_b128 v[12:15], v173 offset:1440
	;; [unrolled: 1-line block ×10, first 2 shown]
.LBB0_5:
	s_or_b64 exec, exec, s[4:5]
	s_waitcnt lgkmcnt(0)
	v_add_f64 v[84:85], v[10:11], -v[46:47]
	v_add_f64 v[72:73], v[8:9], -v[44:45]
	s_mov_b32 s6, 0xf8bb580b
	s_mov_b32 s7, 0xbfe14ced
	v_add_f64 v[48:49], v[8:9], v[44:45]
	v_add_f64 v[88:89], v[10:11], v[46:47]
	v_add_f64 v[92:93], v[14:15], -v[42:43]
	v_add_f64 v[80:81], v[12:13], -v[40:41]
	v_mul_f64 v[50:51], v[84:85], s[6:7]
	v_mul_f64 v[56:57], v[72:73], s[6:7]
	s_mov_b32 s4, 0x8764f0ba
	s_mov_b32 s24, 0x8eee2c13
	;; [unrolled: 1-line block ×4, first 2 shown]
	v_add_f64 v[58:59], v[12:13], v[40:41]
	v_add_f64 v[113:114], v[14:15], v[42:43]
	v_mul_f64 v[52:53], v[92:93], s[24:25]
	v_mul_f64 v[54:55], v[80:81], s[24:25]
	v_fma_f64 v[0:1], v[48:49], s[4:5], v[50:51]
	v_fma_f64 v[2:3], v[88:89], s[4:5], -v[56:57]
	s_mov_b32 s10, 0xd9c712b6
	s_mov_b32 s11, 0x3fda9628
	v_add_f64 v[110:111], v[18:19], -v[38:39]
	v_add_f64 v[66:67], v[16:17], -v[36:37]
	v_fma_f64 v[60:61], v[58:59], s[10:11], v[52:53]
	v_fma_f64 v[62:63], v[113:114], s[10:11], -v[54:55]
	v_add_f64 v[0:1], v[4:5], v[0:1]
	v_add_f64 v[2:3], v[6:7], v[2:3]
	s_mov_b32 s26, 0x43842ef
	s_mov_b32 s27, 0xbfefac9e
	v_add_f64 v[64:65], v[16:17], v[36:37]
	v_add_f64 v[119:120], v[18:19], v[38:39]
	s_mov_b32 s18, 0x640f44db
	s_mov_b32 s19, 0xbfc2375f
	v_add_f64 v[0:1], v[60:61], v[0:1]
	v_add_f64 v[2:3], v[62:63], v[2:3]
	v_mul_f64 v[60:61], v[110:111], s[26:27]
	v_mul_f64 v[62:63], v[66:67], s[26:27]
	;; [unrolled: 1-line block ×4, first 2 shown]
	s_mov_b32 s22, 0xbb3a28a1
	s_mov_b32 s23, 0xbfe82f19
	v_mul_f64 v[90:91], v[92:93], s[22:23]
	v_mul_f64 v[108:109], v[80:81], s[22:23]
	v_fma_f64 v[68:69], v[64:65], s[18:19], v[60:61]
	v_fma_f64 v[70:71], v[119:120], s[18:19], -v[62:63]
	s_mov_b32 s16, 0x7f775887
	s_mov_b32 s30, 0xfd768dbf
	;; [unrolled: 1-line block ×4, first 2 shown]
	v_add_f64 v[123:124], v[22:23], -v[34:35]
	v_add_f64 v[78:79], v[20:21], -v[32:33]
	v_add_f64 v[0:1], v[68:69], v[0:1]
	v_add_f64 v[2:3], v[70:71], v[2:3]
	v_fma_f64 v[68:69], v[48:49], s[10:11], v[82:83]
	v_fma_f64 v[70:71], v[88:89], s[10:11], -v[125:126]
	v_fma_f64 v[96:97], v[58:59], s[16:17], v[90:91]
	v_fma_f64 v[98:99], v[113:114], s[16:17], -v[108:109]
	v_mul_f64 v[94:95], v[110:111], s[30:31]
	v_mul_f64 v[115:116], v[66:67], s[30:31]
	s_mov_b32 s28, 0x9bcd5057
	s_mov_b32 s29, 0xbfeeb42a
	v_add_f64 v[68:69], v[4:5], v[68:69]
	v_add_f64 v[70:71], v[6:7], v[70:71]
	s_mov_b32 s37, 0x3fefac9e
	s_mov_b32 s36, s26
	v_add_f64 v[74:75], v[20:21], v[32:33]
	v_add_f64 v[127:128], v[22:23], v[34:35]
	v_mul_f64 v[76:77], v[123:124], s[22:23]
	v_mul_f64 v[86:87], v[78:79], s[22:23]
	v_add_f64 v[129:130], v[26:27], -v[30:31]
	v_add_f64 v[104:105], v[24:25], -v[28:29]
	v_add_f64 v[68:69], v[96:97], v[68:69]
	v_add_f64 v[70:71], v[98:99], v[70:71]
	v_fma_f64 v[102:103], v[64:65], s[28:29], v[94:95]
	v_fma_f64 v[121:122], v[119:120], s[28:29], -v[115:116]
	v_mul_f64 v[100:101], v[123:124], s[36:37]
	v_mul_f64 v[117:118], v[78:79], s[36:37]
	s_mov_b32 s39, 0xbfd207e7
	s_mov_b32 s38, s30
	;; [unrolled: 1-line block ×4, first 2 shown]
	v_fma_f64 v[133:134], v[74:75], s[16:17], v[76:77]
	v_fma_f64 v[135:136], v[127:128], s[16:17], -v[86:87]
	v_add_f64 v[106:107], v[24:25], v[28:29]
	v_add_f64 v[131:132], v[26:27], v[30:31]
	v_mul_f64 v[96:97], v[129:130], s[38:39]
	v_mul_f64 v[98:99], v[104:105], s[38:39]
	v_add_f64 v[68:69], v[102:103], v[68:69]
	v_add_f64 v[70:71], v[121:122], v[70:71]
	v_fma_f64 v[137:138], v[74:75], s[18:19], v[100:101]
	v_fma_f64 v[139:140], v[127:128], s[18:19], -v[117:118]
	v_mul_f64 v[102:103], v[129:130], s[34:35]
	v_mul_f64 v[121:122], v[104:105], s[34:35]
	v_add_f64 v[0:1], v[133:134], v[0:1]
	v_add_f64 v[2:3], v[135:136], v[2:3]
	v_fma_f64 v[133:134], v[106:107], s[28:29], v[96:97]
	v_fma_f64 v[135:136], v[131:132], s[28:29], -v[98:99]
	v_add_f64 v[68:69], v[137:138], v[68:69]
	v_add_f64 v[70:71], v[139:140], v[70:71]
	v_fma_f64 v[137:138], v[106:107], s[4:5], v[102:103]
	v_fma_f64 v[139:140], v[131:132], s[4:5], -v[121:122]
	v_mul_lo_u16_e32 v175, 11, v174
	v_add_f64 v[0:1], v[133:134], v[0:1]
	v_add_f64 v[2:3], v[135:136], v[2:3]
	; wave barrier
	v_add_f64 v[68:69], v[137:138], v[68:69]
	v_add_f64 v[70:71], v[139:140], v[70:71]
	s_and_saveexec_b64 s[20:21], s[0:1]
	s_cbranch_execz .LBB0_7
; %bb.6:
	v_mul_f64 v[133:134], v[88:89], s[28:29]
	v_mul_f64 v[135:136], v[84:85], s[38:39]
	;; [unrolled: 1-line block ×6, first 2 shown]
	s_mov_b32 s43, 0x3fe82f19
	s_mov_b32 s42, s22
	v_fma_f64 v[139:140], v[72:73], s[30:31], v[133:134]
	v_fma_f64 v[184:185], v[48:49], s[28:29], v[135:136]
	;; [unrolled: 1-line block ×4, first 2 shown]
	s_mov_b32 s41, 0x3fed1bb4
	s_mov_b32 s40, s24
	v_mul_f64 v[143:144], v[127:128], s[10:11]
	v_fma_f64 v[194:195], v[66:67], s[42:43], v[186:187]
	v_add_f64 v[139:140], v[6:7], v[139:140]
	v_add_f64 v[184:185], v[4:5], v[184:185]
	v_fma_f64 v[133:134], v[72:73], s[38:39], v[133:134]
	v_fma_f64 v[196:197], v[64:65], s[16:17], v[190:191]
	v_mul_f64 v[141:142], v[131:132], s[18:19]
	v_fma_f64 v[137:138], v[80:81], s[34:35], v[137:138]
	v_mul_f64 v[198:199], v[129:130], s[26:27]
	v_fma_f64 v[186:187], v[66:67], s[22:23], v[186:187]
	v_add_f64 v[139:140], v[188:189], v[139:140]
	v_mul_f64 v[188:189], v[123:124], s[40:41]
	v_add_f64 v[184:185], v[192:193], v[184:185]
	v_add_f64 v[133:134], v[6:7], v[133:134]
	v_fma_f64 v[192:193], v[78:79], s[24:25], v[143:144]
	v_fma_f64 v[202:203], v[48:49], s[28:29], -v[135:136]
	v_fma_f64 v[143:144], v[78:79], s[40:41], v[143:144]
	v_mul_f64 v[204:205], v[119:120], s[4:5]
	v_add_f64 v[139:140], v[194:195], v[139:140]
	v_fma_f64 v[200:201], v[74:75], s[10:11], v[188:189]
	v_add_f64 v[184:185], v[196:197], v[184:185]
	v_add_f64 v[133:134], v[137:138], v[133:134]
	v_fma_f64 v[137:138], v[104:105], s[36:37], v[141:142]
	v_fma_f64 v[196:197], v[106:107], s[18:19], v[198:199]
	v_mul_f64 v[210:211], v[127:128], s[28:29]
	v_fma_f64 v[212:213], v[66:67], s[34:35], v[204:205]
	v_add_f64 v[139:140], v[192:193], v[139:140]
	v_add_f64 v[10:11], v[6:7], v[10:11]
	;; [unrolled: 1-line block ×5, first 2 shown]
	v_fma_f64 v[141:142], v[104:105], s[26:27], v[141:142]
	v_fma_f64 v[188:189], v[74:75], s[10:11], -v[188:189]
	v_fma_f64 v[216:217], v[78:79], s[30:31], v[210:211]
	v_add_f64 v[135:136], v[137:138], v[139:140]
	v_fma_f64 v[137:138], v[58:59], s[4:5], -v[182:183]
	v_mul_f64 v[139:140], v[88:89], s[16:17]
	v_add_f64 v[182:183], v[4:5], v[202:203]
	v_add_f64 v[133:134], v[196:197], v[184:185]
	v_mul_f64 v[184:185], v[84:85], s[22:23]
	v_add_f64 v[143:144], v[143:144], v[186:187]
	v_fma_f64 v[186:187], v[64:65], s[16:17], -v[190:191]
	v_mul_f64 v[190:191], v[113:114], s[18:19]
	v_fma_f64 v[204:205], v[66:67], s[6:7], v[204:205]
	v_fma_f64 v[196:197], v[72:73], s[42:43], v[139:140]
	v_add_f64 v[137:138], v[137:138], v[182:183]
	v_fma_f64 v[182:183], v[106:107], s[18:19], -v[198:199]
	v_mul_f64 v[198:199], v[92:93], s[36:37]
	v_fma_f64 v[202:203], v[48:49], s[16:17], v[184:185]
	v_fma_f64 v[139:140], v[72:73], s[22:23], v[139:140]
	;; [unrolled: 1-line block ×4, first 2 shown]
	v_add_f64 v[196:197], v[6:7], v[196:197]
	v_add_f64 v[137:138], v[186:187], v[137:138]
	v_mul_f64 v[186:187], v[110:111], s[6:7]
	v_fma_f64 v[208:209], v[58:59], s[18:19], v[198:199]
	v_add_f64 v[202:203], v[4:5], v[202:203]
	v_add_f64 v[139:140], v[6:7], v[139:140]
	;; [unrolled: 1-line block ×5, first 2 shown]
	v_mul_f64 v[206:207], v[123:124], s[38:39]
	v_fma_f64 v[214:215], v[64:65], s[4:5], v[186:187]
	v_mul_f64 v[147:148], v[88:89], s[4:5]
	v_add_f64 v[202:203], v[208:209], v[202:203]
	v_mul_f64 v[208:209], v[131:132], s[10:11]
	v_add_f64 v[190:191], v[190:191], v[139:140]
	v_mul_f64 v[151:152], v[88:89], s[10:11]
	v_add_f64 v[196:197], v[212:213], v[196:197]
	v_mul_f64 v[212:213], v[129:130], s[40:41]
	v_fma_f64 v[218:219], v[74:75], s[28:29], v[206:207]
	v_add_f64 v[137:138], v[188:189], v[137:138]
	v_add_f64 v[202:203], v[214:215], v[202:203]
	;; [unrolled: 1-line block ×3, first 2 shown]
	v_fma_f64 v[141:142], v[104:105], s[24:25], v[208:209]
	v_fma_f64 v[143:144], v[78:79], s[38:39], v[210:211]
	v_add_f64 v[188:189], v[204:205], v[190:191]
	v_add_f64 v[190:191], v[216:217], v[196:197]
	v_fma_f64 v[196:197], v[106:107], s[10:11], v[212:213]
	v_mul_f64 v[88:89], v[88:89], s[18:19]
	v_add_f64 v[202:203], v[218:219], v[202:203]
	v_add_f64 v[10:11], v[10:11], v[18:19]
	v_add_f64 v[8:9], v[8:9], v[16:17]
	v_mul_f64 v[155:156], v[113:114], s[10:11]
	v_mul_f64 v[159:160], v[113:114], s[16:17]
	v_add_f64 v[137:138], v[182:183], v[137:138]
	v_fma_f64 v[182:183], v[104:105], s[40:41], v[208:209]
	v_fma_f64 v[184:185], v[48:49], s[16:17], -v[184:185]
	v_add_f64 v[188:189], v[143:144], v[188:189]
	v_add_f64 v[143:144], v[141:142], v[190:191]
	v_mul_f64 v[113:114], v[113:114], s[28:29]
	v_add_f64 v[141:142], v[196:197], v[202:203]
	v_fma_f64 v[196:197], v[72:73], s[36:37], v[88:89]
	v_fma_f64 v[72:73], v[72:73], s[26:27], v[88:89]
	v_add_f64 v[10:11], v[10:11], v[22:23]
	v_add_f64 v[8:9], v[8:9], v[20:21]
	v_mul_f64 v[145:146], v[48:49], s[4:5]
	v_mul_f64 v[149:150], v[48:49], s[10:11]
	;; [unrolled: 1-line block ×5, first 2 shown]
	v_fma_f64 v[198:199], v[58:59], s[18:19], -v[198:199]
	v_add_f64 v[184:185], v[4:5], v[184:185]
	v_add_f64 v[84:85], v[182:183], v[188:189]
	v_mul_f64 v[119:120], v[119:120], s[10:11]
	v_fma_f64 v[182:183], v[80:81], s[38:39], v[113:114]
	v_fma_f64 v[80:81], v[80:81], s[30:31], v[113:114]
	v_add_f64 v[72:73], v[6:7], v[72:73]
	v_add_f64 v[125:126], v[125:126], v[151:152]
	;; [unrolled: 1-line block ×4, first 2 shown]
	v_mul_f64 v[153:154], v[58:59], s[10:11]
	v_add_f64 v[56:57], v[56:57], v[147:148]
	v_add_f64 v[24:25], v[145:146], -v[50:51]
	v_mul_f64 v[157:158], v[58:59], s[16:17]
	v_fma_f64 v[188:189], v[48:49], s[18:19], v[190:191]
	v_fma_f64 v[48:49], v[48:49], s[18:19], -v[190:191]
	v_add_f64 v[26:27], v[149:150], -v[82:83]
	v_mul_f64 v[92:93], v[92:93], s[30:31]
	v_mul_f64 v[171:172], v[127:128], s[16:17]
	;; [unrolled: 1-line block ×3, first 2 shown]
	v_add_f64 v[184:185], v[198:199], v[184:185]
	v_mul_f64 v[127:128], v[127:128], s[4:5]
	v_fma_f64 v[198:199], v[66:67], s[24:25], v[119:120]
	v_fma_f64 v[66:67], v[66:67], s[40:41], v[119:120]
	v_add_f64 v[72:73], v[80:81], v[72:73]
	v_add_f64 v[80:81], v[108:109], v[159:160]
	;; [unrolled: 1-line block ×5, first 2 shown]
	v_mul_f64 v[161:162], v[64:65], s[18:19]
	v_add_f64 v[196:197], v[6:7], v[196:197]
	v_add_f64 v[54:55], v[54:55], v[155:156]
	;; [unrolled: 1-line block ×3, first 2 shown]
	v_add_f64 v[52:53], v[153:154], -v[52:53]
	v_add_f64 v[24:25], v[4:5], v[24:25]
	v_mul_f64 v[165:166], v[64:65], s[28:29]
	v_add_f64 v[188:189], v[4:5], v[188:189]
	v_add_f64 v[48:49], v[4:5], v[48:49]
	v_add_f64 v[50:51], v[157:158], -v[90:91]
	v_add_f64 v[4:5], v[4:5], v[26:27]
	v_mul_f64 v[110:111], v[110:111], s[40:41]
	v_fma_f64 v[14:15], v[58:59], s[28:29], -v[92:93]
	v_fma_f64 v[186:187], v[64:65], s[4:5], -v[186:187]
	v_fma_f64 v[202:203], v[58:59], s[28:29], v[92:93]
	v_fma_f64 v[12:13], v[78:79], s[6:7], v[127:128]
	v_add_f64 v[58:59], v[66:67], v[72:73]
	v_add_f64 v[66:67], v[115:116], v[167:168]
	;; [unrolled: 1-line block ×5, first 2 shown]
	v_mul_f64 v[169:170], v[74:75], s[16:17]
	v_add_f64 v[28:29], v[62:63], v[163:164]
	v_add_f64 v[6:7], v[54:55], v[6:7]
	v_add_f64 v[30:31], v[161:162], -v[60:61]
	v_add_f64 v[24:25], v[52:53], v[24:25]
	v_mul_f64 v[176:177], v[74:75], s[18:19]
	v_add_f64 v[26:27], v[165:166], -v[94:95]
	v_add_f64 v[4:5], v[50:51], v[4:5]
	v_mul_f64 v[123:124], v[123:124], s[6:7]
	v_fma_f64 v[18:19], v[64:65], s[10:11], -v[110:111]
	v_add_f64 v[14:15], v[14:15], v[48:49]
	v_mul_f64 v[194:195], v[131:132], s[28:29]
	v_mul_f64 v[200:201], v[131:132], s[4:5]
	v_add_f64 v[182:183], v[182:183], v[196:197]
	v_fma_f64 v[196:197], v[74:75], s[28:29], -v[206:207]
	v_add_f64 v[184:185], v[186:187], v[184:185]
	v_mul_f64 v[131:132], v[131:132], s[16:17]
	v_fma_f64 v[204:205], v[64:65], s[10:11], v[110:111]
	v_add_f64 v[188:189], v[202:203], v[188:189]
	v_add_f64 v[12:13], v[12:13], v[58:59]
	;; [unrolled: 1-line block ×6, first 2 shown]
	v_mul_f64 v[180:181], v[106:107], s[28:29]
	v_add_f64 v[34:35], v[86:87], v[171:172]
	v_add_f64 v[6:7], v[28:29], v[6:7]
	v_add_f64 v[28:29], v[169:170], -v[76:77]
	v_add_f64 v[24:25], v[30:31], v[24:25]
	v_mul_f64 v[192:193], v[106:107], s[4:5]
	v_add_f64 v[32:33], v[176:177], -v[100:101]
	v_add_f64 v[4:5], v[26:27], v[4:5]
	v_mul_f64 v[88:89], v[129:130], s[22:23]
	v_fma_f64 v[22:23], v[74:75], s[4:5], -v[123:124]
	v_add_f64 v[14:15], v[18:19], v[14:15]
	v_fma_f64 v[186:187], v[78:79], s[34:35], v[127:128]
	v_add_f64 v[182:183], v[198:199], v[182:183]
	v_add_f64 v[129:130], v[196:197], v[184:185]
	v_fma_f64 v[196:197], v[74:75], s[4:5], v[123:124]
	v_add_f64 v[188:189], v[204:205], v[188:189]
	v_fma_f64 v[16:17], v[104:105], s[22:23], v[131:132]
	v_add_f64 v[18:19], v[121:122], v[200:201]
	v_add_f64 v[48:49], v[48:49], v[58:59]
	;; [unrolled: 1-line block ×6, first 2 shown]
	v_add_f64 v[36:37], v[180:181], -v[96:97]
	v_add_f64 v[24:25], v[28:29], v[24:25]
	v_add_f64 v[26:27], v[192:193], -v[102:103]
	v_add_f64 v[4:5], v[32:33], v[4:5]
	v_fma_f64 v[20:21], v[106:107], s[16:17], -v[88:89]
	v_add_f64 v[22:23], v[22:23], v[14:15]
	v_fma_f64 v[198:199], v[106:107], s[10:11], -v[212:213]
	v_fma_f64 v[184:185], v[104:105], s[42:43], v[131:132]
	v_add_f64 v[182:183], v[186:187], v[182:183]
	v_fma_f64 v[113:114], v[106:107], s[16:17], v[88:89]
	v_add_f64 v[151:152], v[196:197], v[188:189]
	v_add_f64 v[6:7], v[16:17], v[12:13]
	;; [unrolled: 1-line block ×10, first 2 shown]
	v_lshlrev_b32_e32 v24, 4, v175
	v_add_f64 v[22:23], v[184:185], v[182:183]
	v_add_f64 v[20:21], v[113:114], v[151:152]
	ds_write_b128 v24, v[16:19]
	ds_write_b128 v24, v[12:15] offset:16
	ds_write_b128 v24, v[8:11] offset:32
	;; [unrolled: 1-line block ×10, first 2 shown]
.LBB0_7:
	s_or_b64 exec, exec, s[20:21]
	s_load_dwordx4 s[4:7], s[2:3], 0x0
	s_movk_i32 s2, 0x75
	v_mul_lo_u16_sdwa v4, v174, s2 dst_sel:DWORD dst_unused:UNUSED_PAD src0_sel:BYTE_0 src1_sel:DWORD
	v_sub_u16_sdwa v5, v174, v4 dst_sel:DWORD dst_unused:UNUSED_PAD src0_sel:DWORD src1_sel:BYTE_1
	v_lshrrev_b16_e32 v5, 1, v5
	v_and_b32_e32 v5, 0x7f, v5
	v_add_u16_sdwa v4, v5, v4 dst_sel:DWORD dst_unused:UNUSED_PAD src0_sel:DWORD src1_sel:BYTE_1
	v_lshrrev_b16_e32 v125, 3, v4
	v_mul_lo_u16_e32 v4, 11, v125
	v_sub_u16_e32 v4, v174, v4
	v_and_b32_e32 v126, 0xff, v4
	v_lshlrev_b32_e32 v4, 7, v126
	s_waitcnt lgkmcnt(0)
	; wave barrier
	s_waitcnt lgkmcnt(0)
	global_load_dwordx4 v[32:35], v4, s[8:9]
	global_load_dwordx4 v[28:31], v4, s[8:9] offset:16
	global_load_dwordx4 v[24:27], v4, s[8:9] offset:32
	;; [unrolled: 1-line block ×7, first 2 shown]
	ds_read_b128 v[4:7], v173
	ds_read_b128 v[8:11], v173 offset:880
	ds_read_b128 v[12:15], v173 offset:1760
	;; [unrolled: 1-line block ×8, first 2 shown]
	s_mov_b32 s26, 0xa2cf5039
	s_mov_b32 s17, 0x3fe491b7
	;; [unrolled: 1-line block ×16, first 2 shown]
	s_waitcnt lgkmcnt(0)
	; wave barrier
	s_waitcnt vmcnt(7) lgkmcnt(0)
	v_mul_f64 v[76:77], v[10:11], v[34:35]
	v_mul_f64 v[78:79], v[8:9], v[34:35]
	s_waitcnt vmcnt(6)
	v_mul_f64 v[80:81], v[14:15], v[30:31]
	v_mul_f64 v[82:83], v[12:13], v[30:31]
	s_waitcnt vmcnt(5)
	;; [unrolled: 3-line block ×3, first 2 shown]
	v_mul_f64 v[88:89], v[54:55], v[22:23]
	s_waitcnt vmcnt(0)
	v_mul_f64 v[104:105], v[74:75], v[50:51]
	v_mul_f64 v[106:107], v[72:73], v[50:51]
	;; [unrolled: 1-line block ×9, first 2 shown]
	v_fma_f64 v[8:9], v[8:9], v[32:33], -v[76:77]
	v_fma_f64 v[10:11], v[10:11], v[32:33], v[78:79]
	v_fma_f64 v[72:73], v[72:73], v[48:49], -v[104:105]
	v_fma_f64 v[74:75], v[74:75], v[48:49], v[106:107]
	;; [unrolled: 2-line block ×8, first 2 shown]
	v_add_f64 v[80:81], v[8:9], v[72:73]
	v_add_f64 v[82:83], v[10:11], v[74:75]
	v_add_f64 v[72:73], v[8:9], -v[72:73]
	v_add_f64 v[74:75], v[10:11], -v[74:75]
	v_add_f64 v[76:77], v[12:13], v[64:65]
	v_add_f64 v[78:79], v[14:15], v[66:67]
	;; [unrolled: 1-line block ×4, first 2 shown]
	v_add_f64 v[8:9], v[12:13], -v[64:65]
	v_add_f64 v[10:11], v[14:15], -v[66:67]
	;; [unrolled: 1-line block ×5, first 2 shown]
	v_add_f64 v[18:19], v[52:53], v[56:57]
	v_add_f64 v[60:61], v[54:55], v[58:59]
	v_add_f64 v[62:63], v[54:55], -v[58:59]
	v_mul_f64 v[64:65], v[72:73], s[16:17]
	v_mul_f64 v[66:67], v[74:75], s[16:17]
	v_fma_f64 v[90:91], v[82:83], s[26:27], v[6:7]
	s_mov_b32 s17, 0xbfe491b7
	v_fma_f64 v[88:89], v[80:81], s[26:27], v[4:5]
	v_fma_f64 v[92:93], v[18:19], s[26:27], v[4:5]
	;; [unrolled: 1-line block ×3, first 2 shown]
	v_mul_f64 v[117:118], v[16:17], s[16:17]
	v_mul_f64 v[119:120], v[62:63], s[16:17]
	v_fma_f64 v[64:65], v[8:9], s[18:19], v[64:65]
	v_fma_f64 v[66:67], v[10:11], s[18:19], v[66:67]
	;; [unrolled: 1-line block ×10, first 2 shown]
	v_fma_f64 v[90:91], v[86:87], -0.5, v[90:91]
	v_add_f64 v[96:97], v[16:17], v[72:73]
	v_add_f64 v[98:99], v[62:63], v[74:75]
	;; [unrolled: 1-line block ×4, first 2 shown]
	v_mul_f64 v[108:109], v[16:17], s[18:19]
	v_mul_f64 v[110:111], v[62:63], s[18:19]
	v_fma_f64 v[113:114], v[76:77], s[26:27], v[4:5]
	v_fma_f64 v[115:116], v[78:79], s[26:27], v[6:7]
	v_fma_f64 v[88:89], v[84:85], -0.5, v[88:89]
	v_fma_f64 v[92:93], v[84:85], -0.5, v[92:93]
	;; [unrolled: 1-line block ×3, first 2 shown]
	v_fma_f64 v[117:118], v[12:13], s[24:25], v[117:118]
	v_fma_f64 v[119:120], v[14:15], s[24:25], v[119:120]
	;; [unrolled: 1-line block ×5, first 2 shown]
	v_add_f64 v[98:99], v[98:99], -v[10:11]
	v_add_f64 v[121:122], v[18:19], v[104:105]
	v_add_f64 v[123:124], v[60:61], v[106:107]
	v_fma_f64 v[108:109], v[8:9], s[16:17], -v[108:109]
	v_fma_f64 v[110:111], v[10:11], s[16:17], -v[110:111]
	v_fma_f64 v[64:65], v[18:19], s[20:21], v[88:89]
	v_fma_f64 v[76:77], v[76:77], s[20:21], v[92:93]
	;; [unrolled: 1-line block ×5, first 2 shown]
	v_add_f64 v[10:11], v[66:67], -v[16:17]
	v_fma_f64 v[18:19], v[18:19], s[22:23], v[113:114]
	v_fma_f64 v[60:61], v[60:61], s[22:23], v[115:116]
	v_add_f64 v[88:89], v[84:85], v[104:105]
	v_add_f64 v[90:91], v[86:87], v[106:107]
	v_add_f64 v[96:97], v[96:97], -v[8:9]
	v_add_f64 v[8:9], v[62:63], v[64:65]
	v_fma_f64 v[64:65], v[12:13], s[2:3], v[108:109]
	v_fma_f64 v[66:67], v[14:15], s[2:3], v[110:111]
	v_add_f64 v[14:15], v[78:79], -v[94:95]
	v_fma_f64 v[78:79], v[16:17], 2.0, v[10:11]
	v_fma_f64 v[16:17], v[84:85], -0.5, v[18:19]
	v_fma_f64 v[18:19], v[86:87], -0.5, v[60:61]
	v_add_f64 v[100:101], v[4:5], v[84:85]
	v_add_f64 v[102:103], v[6:7], v[86:87]
	v_add_f64 v[52:53], v[52:53], v[88:89]
	v_add_f64 v[54:55], v[54:55], v[90:91]
	v_fma_f64 v[64:65], v[72:73], s[10:11], v[64:65]
	v_fma_f64 v[66:67], v[74:75], s[10:11], v[66:67]
	;; [unrolled: 1-line block ×4, first 2 shown]
	v_add_f64 v[12:13], v[92:93], v[76:77]
	v_fma_f64 v[76:77], v[62:63], -2.0, v[8:9]
	v_fma_f64 v[60:61], v[121:122], -0.5, v[100:101]
	;; [unrolled: 1-line block ×3, first 2 shown]
	v_add_f64 v[56:57], v[56:57], v[52:53]
	v_add_f64 v[58:59], v[58:59], v[54:55]
	;; [unrolled: 1-line block ×3, first 2 shown]
	v_add_f64 v[54:55], v[74:75], -v[64:65]
	v_mul_f64 v[82:83], v[96:97], s[2:3]
	v_mul_f64 v[80:81], v[98:99], s[2:3]
	v_fma_f64 v[16:17], v[98:99], s[2:3], v[60:61]
	v_fma_f64 v[18:19], v[96:97], s[24:25], v[62:63]
	v_add_f64 v[4:5], v[4:5], v[56:57]
	v_add_f64 v[6:7], v[6:7], v[58:59]
	v_fma_f64 v[86:87], v[66:67], -2.0, v[52:53]
	v_fma_f64 v[88:89], v[64:65], 2.0, v[54:55]
	v_mul_u32_u24_e32 v56, 0x63, v125
	v_fma_f64 v[90:91], v[92:93], -2.0, v[12:13]
	v_fma_f64 v[80:81], v[80:81], -2.0, v[16:17]
	v_fma_f64 v[82:83], v[82:83], 2.0, v[18:19]
	v_fma_f64 v[92:93], v[94:95], 2.0, v[14:15]
	v_add_lshl_u32 v176, v56, v126, 4
	ds_write_b128 v176, v[4:7]
	ds_write_b128 v176, v[8:11] offset:176
	ds_write_b128 v176, v[12:15] offset:352
	;; [unrolled: 1-line block ×8, first 2 shown]
	s_waitcnt lgkmcnt(0)
	; wave barrier
	s_waitcnt lgkmcnt(0)
	ds_read_b128 v[72:75], v173
	ds_read_b128 v[106:109], v173 offset:1584
	ds_read_b128 v[102:105], v173 offset:3168
	;; [unrolled: 1-line block ×4, first 2 shown]
	v_cmp_gt_u16_e64 s[2:3], 44, v174
	s_and_saveexec_b64 s[10:11], s[2:3]
	s_cbranch_execz .LBB0_9
; %bb.8:
	ds_read_b128 v[86:89], v173 offset:880
	ds_read_b128 v[80:83], v173 offset:2464
	;; [unrolled: 1-line block ×5, first 2 shown]
.LBB0_9:
	s_or_b64 exec, exec, s[10:11]
	v_add_co_u32_e32 v4, vcc, 55, v174
	v_addc_co_u32_e64 v5, s[10:11], 0, 0, vcc
	v_lshlrev_b32_e32 v6, 6, v174
	global_load_dwordx4 v[52:55], v6, s[8:9] offset:1456
	global_load_dwordx4 v[56:59], v6, s[8:9] offset:1440
	;; [unrolled: 1-line block ×4, first 2 shown]
	s_movk_i32 s10, 0xffd4
	v_add_co_u32_e32 v6, vcc, s10, v174
	v_addc_co_u32_e64 v7, s[10:11], 0, -1, vcc
	v_cndmask_b32_e64 v5, v7, v5, s[2:3]
	v_cndmask_b32_e64 v4, v6, v4, s[2:3]
	v_lshlrev_b64 v[4:5], 6, v[4:5]
	v_mov_b32_e32 v6, s9
	v_add_co_u32_e32 v84, vcc, s8, v4
	v_addc_co_u32_e32 v85, vcc, v6, v5, vcc
	global_load_dwordx4 v[4:7], v[84:85], off offset:1408
	global_load_dwordx4 v[16:19], v[84:85], off offset:1424
	;; [unrolled: 1-line block ×4, first 2 shown]
	s_mov_b32 s16, 0x134454ff
	s_mov_b32 s17, 0x3fee6f0e
	;; [unrolled: 1-line block ×10, first 2 shown]
	s_waitcnt vmcnt(7) lgkmcnt(0)
	v_mul_f64 v[121:122], v[96:97], v[54:55]
	s_waitcnt vmcnt(6)
	v_mul_f64 v[117:118], v[100:101], v[58:59]
	s_waitcnt vmcnt(5)
	;; [unrolled: 2-line block ×3, first 2 shown]
	v_mul_f64 v[84:85], v[108:109], v[66:67]
	v_mul_f64 v[110:111], v[106:107], v[66:67]
	v_mul_f64 v[115:116], v[102:103], v[62:63]
	v_mul_f64 v[119:120], v[98:99], v[58:59]
	v_mul_f64 v[123:124], v[94:95], v[54:55]
	v_fma_f64 v[94:95], v[94:95], v[52:53], -v[121:122]
	v_fma_f64 v[98:99], v[98:99], v[56:57], -v[117:118]
	;; [unrolled: 1-line block ×4, first 2 shown]
	v_fma_f64 v[106:107], v[108:109], v[64:65], v[110:111]
	v_fma_f64 v[104:105], v[104:105], v[60:61], v[115:116]
	s_waitcnt vmcnt(3)
	v_mul_f64 v[125:126], v[82:83], v[6:7]
	v_mul_f64 v[127:128], v[80:81], v[6:7]
	s_waitcnt vmcnt(2)
	v_mul_f64 v[129:130], v[92:93], v[18:19]
	s_waitcnt vmcnt(0)
	v_mul_f64 v[137:138], v[70:71], v[10:11]
	v_mul_f64 v[139:140], v[68:69], v[10:11]
	;; [unrolled: 1-line block ×4, first 2 shown]
	v_fma_f64 v[100:101], v[100:101], v[56:57], v[119:120]
	v_fma_f64 v[96:97], v[96:97], v[52:53], v[123:124]
	v_mul_f64 v[135:136], v[76:77], v[14:15]
	v_fma_f64 v[108:109], v[80:81], v[4:5], -v[125:126]
	v_fma_f64 v[119:120], v[68:69], v[8:9], -v[137:138]
	v_fma_f64 v[121:122], v[70:71], v[8:9], v[139:140]
	v_add_f64 v[68:69], v[72:73], v[84:85]
	v_add_f64 v[70:71], v[102:103], v[98:99]
	v_fma_f64 v[110:111], v[82:83], v[4:5], v[127:128]
	v_fma_f64 v[90:91], v[90:91], v[16:17], -v[129:130]
	v_fma_f64 v[113:114], v[92:93], v[16:17], v[131:132]
	v_fma_f64 v[115:116], v[76:77], v[12:13], -v[133:134]
	v_add_f64 v[76:77], v[106:107], -v[96:97]
	v_add_f64 v[92:93], v[84:85], v[94:95]
	v_add_f64 v[127:128], v[74:75], v[106:107]
	;; [unrolled: 1-line block ×4, first 2 shown]
	v_fma_f64 v[70:71], v[70:71], -0.5, v[72:73]
	v_fma_f64 v[117:118], v[78:79], v[12:13], v[135:136]
	v_add_f64 v[78:79], v[104:105], -v[100:101]
	v_add_f64 v[80:81], v[84:85], -v[102:103]
	;; [unrolled: 1-line block ×7, first 2 shown]
	v_add_f64 v[137:138], v[106:107], v[96:97]
	v_add_f64 v[141:142], v[86:87], v[108:109]
	;; [unrolled: 1-line block ×3, first 2 shown]
	v_fma_f64 v[72:73], v[92:93], -0.5, v[72:73]
	v_add_f64 v[92:93], v[127:128], v[104:105]
	v_fma_f64 v[102:103], v[129:130], -0.5, v[74:75]
	v_add_f64 v[68:69], v[68:69], v[98:99]
	v_fma_f64 v[98:99], v[76:77], s[16:17], v[70:71]
	v_add_f64 v[133:134], v[106:107], -v[104:105]
	v_add_f64 v[135:136], v[96:97], -v[100:101]
	;; [unrolled: 1-line block ×4, first 2 shown]
	v_add_f64 v[80:81], v[80:81], v[82:83]
	v_add_f64 v[82:83], v[123:124], v[125:126]
	v_fma_f64 v[74:75], v[137:138], -0.5, v[74:75]
	v_add_f64 v[123:124], v[141:142], v[90:91]
	v_fma_f64 v[125:126], v[143:144], -0.5, v[86:87]
	v_fma_f64 v[70:71], v[76:77], s[20:21], v[70:71]
	v_fma_f64 v[127:128], v[78:79], s[20:21], v[72:73]
	;; [unrolled: 1-line block ×3, first 2 shown]
	v_add_f64 v[92:93], v[92:93], v[100:101]
	v_fma_f64 v[100:101], v[84:85], s[20:21], v[102:103]
	v_fma_f64 v[102:103], v[84:85], s[16:17], v[102:103]
	v_add_f64 v[68:69], v[68:69], v[94:95]
	v_fma_f64 v[94:95], v[78:79], s[8:9], v[98:99]
	v_add_f64 v[106:107], v[104:105], -v[106:107]
	v_add_f64 v[147:148], v[113:114], -v[117:118]
	;; [unrolled: 1-line block ×4, first 2 shown]
	v_add_f64 v[153:154], v[108:109], v[119:120]
	v_add_f64 v[104:105], v[133:134], v[135:136]
	v_fma_f64 v[129:130], v[131:132], s[16:17], v[74:75]
	v_fma_f64 v[74:75], v[131:132], s[20:21], v[74:75]
	v_fma_f64 v[133:134], v[145:146], s[16:17], v[125:126]
	v_fma_f64 v[78:79], v[78:79], s[18:19], v[70:71]
	v_fma_f64 v[98:99], v[76:77], s[8:9], v[127:128]
	v_fma_f64 v[127:128], v[76:77], s[18:19], v[72:73]
	v_add_f64 v[70:71], v[92:93], v[96:97]
	v_fma_f64 v[92:93], v[131:132], s[18:19], v[100:101]
	v_fma_f64 v[96:97], v[131:132], s[8:9], v[102:103]
	;; [unrolled: 1-line block ×3, first 2 shown]
	v_add_f64 v[94:95], v[123:124], v[115:116]
	v_add_f64 v[106:107], v[106:107], v[139:140]
	v_fma_f64 v[100:101], v[84:85], s[18:19], v[129:130]
	v_fma_f64 v[102:103], v[84:85], s[8:9], v[74:75]
	;; [unrolled: 1-line block ×6, first 2 shown]
	v_add_f64 v[123:124], v[149:150], v[151:152]
	v_fma_f64 v[74:75], v[104:105], s[10:11], v[92:93]
	v_fma_f64 v[127:128], v[153:154], -0.5, v[86:87]
	v_fma_f64 v[86:87], v[104:105], s[10:11], v[96:97]
	v_add_f64 v[92:93], v[94:95], v[119:120]
	v_add_f64 v[94:95], v[113:114], v[117:118]
	;; [unrolled: 1-line block ×3, first 2 shown]
	v_fma_f64 v[78:79], v[106:107], s[10:11], v[100:101]
	v_fma_f64 v[82:83], v[106:107], s[10:11], v[102:103]
	;; [unrolled: 1-line block ×4, first 2 shown]
	v_add_f64 v[102:103], v[90:91], -v[108:109]
	v_add_f64 v[106:107], v[115:116], -v[119:120]
	v_add_f64 v[125:126], v[88:89], v[110:111]
	v_fma_f64 v[94:95], v[94:95], -0.5, v[88:89]
	v_add_f64 v[108:109], v[108:109], -v[119:120]
	v_add_f64 v[90:91], v[90:91], -v[115:116]
	v_fma_f64 v[88:89], v[104:105], -0.5, v[88:89]
	v_fma_f64 v[100:101], v[147:148], s[20:21], v[127:128]
	v_fma_f64 v[104:105], v[147:148], s[16:17], v[127:128]
	v_add_f64 v[102:103], v[102:103], v[106:107]
	v_add_f64 v[106:107], v[125:126], v[113:114]
	v_add_f64 v[119:120], v[110:111], -v[113:114]
	v_fma_f64 v[115:116], v[108:109], s[20:21], v[94:95]
	v_add_f64 v[125:126], v[121:122], -v[117:118]
	v_fma_f64 v[94:95], v[108:109], s[16:17], v[94:95]
	v_fma_f64 v[127:128], v[90:91], s[16:17], v[88:89]
	v_add_f64 v[110:111], v[113:114], -v[110:111]
	v_add_f64 v[113:114], v[117:118], -v[121:122]
	v_fma_f64 v[88:89], v[90:91], s[20:21], v[88:89]
	v_fma_f64 v[98:99], v[147:148], s[18:19], v[98:99]
	;; [unrolled: 1-line block ×4, first 2 shown]
	v_add_f64 v[106:107], v[106:107], v[117:118]
	v_fma_f64 v[115:116], v[90:91], s[18:19], v[115:116]
	v_add_f64 v[117:118], v[119:120], v[125:126]
	v_fma_f64 v[90:91], v[90:91], s[8:9], v[94:95]
	v_fma_f64 v[119:120], v[108:109], s[18:19], v[127:128]
	v_add_f64 v[113:114], v[110:111], v[113:114]
	v_fma_f64 v[88:89], v[108:109], s[8:9], v[88:89]
	v_fma_f64 v[108:109], v[123:124], s[10:11], v[98:99]
	;; [unrolled: 1-line block ×4, first 2 shown]
	v_add_f64 v[94:95], v[106:107], v[121:122]
	v_fma_f64 v[98:99], v[117:118], s[10:11], v[115:116]
	v_fma_f64 v[110:111], v[117:118], s[10:11], v[90:91]
	;; [unrolled: 1-line block ×4, first 2 shown]
	ds_write_b128 v173, v[68:71]
	ds_write_b128 v173, v[72:75] offset:1584
	ds_write_b128 v173, v[76:79] offset:3168
	;; [unrolled: 1-line block ×4, first 2 shown]
	s_and_saveexec_b64 s[8:9], s[2:3]
	s_cbranch_execz .LBB0_11
; %bb.10:
	ds_write_b128 v173, v[92:95] offset:880
	ds_write_b128 v173, v[96:99] offset:2464
	;; [unrolled: 1-line block ×5, first 2 shown]
.LBB0_11:
	s_or_b64 exec, exec, s[8:9]
	s_waitcnt lgkmcnt(0)
	; wave barrier
	s_waitcnt lgkmcnt(0)
	s_and_saveexec_b64 s[8:9], s[0:1]
	s_cbranch_execz .LBB0_13
; %bb.12:
	v_mov_b32_e32 v88, s15
	v_add_co_u32_e32 v133, vcc, s14, v173
	v_addc_co_u32_e32 v146, vcc, 0, v88, vcc
	v_add_co_u32_e32 v149, vcc, 0x1ef0, v133
	v_addc_co_u32_e32 v150, vcc, 0, v146, vcc
	s_movk_i32 s10, 0x2000
	v_add_co_u32_e32 v125, vcc, s10, v133
	global_load_dwordx4 v[88:91], v[149:150], off offset:720
	global_load_dwordx4 v[113:116], v[149:150], off offset:1440
	;; [unrolled: 1-line block ×4, first 2 shown]
	v_addc_co_u32_e32 v126, vcc, 0, v146, vcc
	s_movk_i32 s10, 0x3000
	v_add_co_u32_e32 v141, vcc, s10, v133
	v_addc_co_u32_e32 v142, vcc, 0, v146, vcc
	global_load_dwordx4 v[125:128], v[125:126], off offset:4048
	s_nop 0
	global_load_dwordx4 v[129:132], v[141:142], off offset:672
	v_add_co_u32_e32 v145, vcc, 0x1000, v133
	v_addc_co_u32_e32 v146, vcc, 0, v146, vcc
	global_load_dwordx4 v[133:136], v[141:142], off offset:1392
	global_load_dwordx4 v[137:140], v[141:142], off offset:2112
	s_nop 0
	global_load_dwordx4 v[141:144], v[141:142], off offset:2832
	s_nop 0
	;; [unrolled: 2-line block ×3, first 2 shown]
	global_load_dwordx4 v[149:152], v[149:150], off offset:3600
	ds_read_b128 v[153:156], v173
	ds_read_b128 v[157:160], v173 offset:720
	ds_read_b128 v[161:164], v173 offset:1440
	;; [unrolled: 1-line block ×10, first 2 shown]
	s_waitcnt vmcnt(10) lgkmcnt(9)
	v_mul_f64 v[201:202], v[159:160], v[90:91]
	v_mul_f64 v[90:91], v[157:158], v[90:91]
	s_waitcnt vmcnt(9) lgkmcnt(8)
	v_mul_f64 v[203:204], v[163:164], v[115:116]
	v_mul_f64 v[115:116], v[161:162], v[115:116]
	;; [unrolled: 3-line block ×4, first 2 shown]
	v_fma_f64 v[157:158], v[157:158], v[88:89], -v[201:202]
	v_fma_f64 v[159:160], v[159:160], v[88:89], v[90:91]
	s_waitcnt vmcnt(6) lgkmcnt(4)
	v_mul_f64 v[209:210], v[183:184], v[127:128]
	v_mul_f64 v[127:128], v[181:182], v[127:128]
	s_waitcnt vmcnt(5) lgkmcnt(3)
	v_mul_f64 v[211:212], v[187:188], v[131:132]
	v_mul_f64 v[131:132], v[185:186], v[131:132]
	;; [unrolled: 3-line block ×5, first 2 shown]
	s_waitcnt vmcnt(1)
	v_mul_f64 v[219:220], v[155:156], v[147:148]
	v_mul_f64 v[147:148], v[153:154], v[147:148]
	s_waitcnt vmcnt(0)
	v_mul_f64 v[221:222], v[179:180], v[151:152]
	v_mul_f64 v[151:152], v[177:178], v[151:152]
	v_fma_f64 v[88:89], v[161:162], v[113:114], -v[203:204]
	v_fma_f64 v[90:91], v[163:164], v[113:114], v[115:116]
	v_fma_f64 v[113:114], v[165:166], v[117:118], -v[205:206]
	v_fma_f64 v[115:116], v[167:168], v[117:118], v[119:120]
	;; [unrolled: 2-line block ×10, first 2 shown]
	ds_write_b128 v173, v[157:160] offset:720
	ds_write_b128 v173, v[88:91] offset:1440
	;; [unrolled: 1-line block ×8, first 2 shown]
	ds_write_b128 v173, v[141:144]
	ds_write_b128 v173, v[145:148] offset:3600
	ds_write_b128 v173, v[137:140] offset:7200
.LBB0_13:
	s_or_b64 exec, exec, s[8:9]
	s_waitcnt lgkmcnt(0)
	; wave barrier
	s_waitcnt lgkmcnt(0)
	s_and_saveexec_b64 s[8:9], s[0:1]
	s_cbranch_execz .LBB0_15
; %bb.14:
	ds_read_b128 v[68:71], v173
	ds_read_b128 v[72:75], v173 offset:720
	ds_read_b128 v[76:79], v173 offset:1440
	;; [unrolled: 1-line block ×10, first 2 shown]
.LBB0_15:
	s_or_b64 exec, exec, s[8:9]
	s_waitcnt lgkmcnt(0)
	v_add_f64 v[115:116], v[74:75], v[2:3]
	s_mov_b32 s8, 0xd9c712b6
	s_mov_b32 s9, 0x3fda9628
	v_add_f64 v[117:118], v[74:75], -v[2:3]
	v_add_f64 v[149:150], v[72:73], -v[0:1]
	v_add_f64 v[121:122], v[78:79], v[110:111]
	s_mov_b32 s10, 0x8eee2c13
	s_mov_b32 s16, 0x7f775887
	v_mul_f64 v[163:164], v[115:116], s[8:9]
	s_mov_b32 s11, 0xbfed1bb4
	s_mov_b32 s17, 0xbfe4f49e
	v_add_f64 v[113:114], v[72:73], v[0:1]
	v_mul_f64 v[159:160], v[117:118], s[10:11]
	v_add_f64 v[123:124], v[78:79], -v[110:111]
	v_add_f64 v[133:134], v[76:77], -v[108:109]
	v_mul_f64 v[165:166], v[121:122], s[16:17]
	v_fma_f64 v[90:91], v[149:150], s[10:11], v[163:164]
	v_add_f64 v[127:128], v[82:83], v[106:107]
	s_mov_b32 s22, 0xbb3a28a1
	s_mov_b32 s20, 0x9bcd5057
	;; [unrolled: 1-line block ×4, first 2 shown]
	v_add_f64 v[119:120], v[76:77], v[108:109]
	v_fma_f64 v[88:89], v[113:114], s[8:9], -v[159:160]
	v_mul_f64 v[161:162], v[123:124], s[22:23]
	v_add_f64 v[90:91], v[70:71], v[90:91]
	v_fma_f64 v[135:136], v[133:134], s[22:23], v[165:166]
	v_add_f64 v[129:130], v[82:83], -v[106:107]
	v_add_f64 v[141:142], v[80:81], -v[104:105]
	v_mul_f64 v[167:168], v[127:128], s[20:21]
	s_mov_b32 s36, 0xfd768dbf
	s_mov_b32 s37, 0x3fd207e7
	v_fma_f64 v[131:132], v[119:120], s[16:17], -v[161:162]
	v_add_f64 v[88:89], v[68:69], v[88:89]
	v_add_f64 v[125:126], v[80:81], v[104:105]
	v_mul_f64 v[145:146], v[129:130], s[36:37]
	v_add_f64 v[90:91], v[135:136], v[90:91]
	v_fma_f64 v[139:140], v[141:142], s[36:37], v[167:168]
	v_add_f64 v[143:144], v[86:87], -v[102:103]
	v_add_f64 v[135:136], v[86:87], v[102:103]
	s_mov_b32 s24, 0x640f44db
	s_mov_b32 s40, 0x43842ef
	s_mov_b32 s25, 0xbfc2375f
	s_mov_b32 s41, 0x3fefac9e
	v_add_f64 v[88:89], v[131:132], v[88:89]
	v_fma_f64 v[137:138], v[125:126], s[20:21], -v[145:146]
	v_add_f64 v[131:132], v[84:85], v[100:101]
	v_add_f64 v[147:148], v[84:85], -v[100:101]
	v_mul_f64 v[153:154], v[143:144], s[40:41]
	v_mul_f64 v[169:170], v[135:136], s[24:25]
	v_add_f64 v[90:91], v[139:140], v[90:91]
	v_add_f64 v[151:152], v[94:95], -v[98:99]
	v_add_f64 v[139:140], v[94:95], v[98:99]
	s_mov_b32 s26, 0x8764f0ba
	s_mov_b32 s27, 0x3feaeb8c
	;; [unrolled: 1-line block ×4, first 2 shown]
	v_add_f64 v[88:89], v[137:138], v[88:89]
	v_fma_f64 v[177:178], v[131:132], s[24:25], -v[153:154]
	v_fma_f64 v[179:180], v[147:148], s[40:41], v[169:170]
	v_add_f64 v[137:138], v[92:93], v[96:97]
	v_add_f64 v[155:156], v[92:93], -v[96:97]
	v_mul_f64 v[157:158], v[151:152], s[28:29]
	v_mul_f64 v[171:172], v[139:140], s[26:27]
	s_waitcnt lgkmcnt(0)
	; wave barrier
	v_add_f64 v[88:89], v[177:178], v[88:89]
	v_add_f64 v[90:91], v[179:180], v[90:91]
	v_fma_f64 v[177:178], v[137:138], s[26:27], -v[157:158]
	v_fma_f64 v[179:180], v[155:156], s[28:29], v[171:172]
	v_add_f64 v[88:89], v[177:178], v[88:89]
	v_add_f64 v[90:91], v[179:180], v[90:91]
	s_and_saveexec_b64 s[18:19], s[0:1]
	s_cbranch_execz .LBB0_17
; %bb.16:
	s_mov_b32 s31, 0xbfd207e7
	s_mov_b32 s30, s36
	v_mul_f64 v[177:178], v[149:150], s[30:31]
	v_mul_f64 v[179:180], v[133:134], s[28:29]
	;; [unrolled: 1-line block ×3, first 2 shown]
	s_mov_b32 s39, 0x3fed1bb4
	s_mov_b32 s38, s10
	v_mul_f64 v[189:190], v[147:148], s[38:39]
	v_mul_f64 v[221:222], v[117:118], s[30:31]
	s_mov_b32 s35, 0xbfefac9e
	v_fma_f64 v[181:182], v[115:116], s[20:21], v[177:178]
	v_fma_f64 v[185:186], v[121:122], s[26:27], v[179:180]
	;; [unrolled: 1-line block ×3, first 2 shown]
	s_mov_b32 s34, s40
	v_mul_f64 v[215:216], v[149:150], s[22:23]
	v_mul_f64 v[217:218], v[155:156], s[34:35]
	v_fma_f64 v[223:224], v[135:136], s[8:9], v[189:190]
	v_fma_f64 v[231:232], v[113:114], s[20:21], -v[221:222]
	v_add_f64 v[181:182], v[70:71], v[181:182]
	v_mul_f64 v[187:188], v[129:130], s[22:23]
	v_mul_f64 v[195:196], v[133:134], s[40:41]
	v_fma_f64 v[229:230], v[121:122], s[26:27], -v[179:180]
	v_fma_f64 v[177:178], v[115:116], s[20:21], -v[177:178]
	v_fma_f64 v[179:180], v[139:140], s[24:25], v[217:218]
	v_fma_f64 v[221:222], v[113:114], s[20:21], v[221:222]
	v_add_f64 v[231:232], v[68:69], v[231:232]
	v_add_f64 v[181:182], v[185:186], v[181:182]
	v_mul_f64 v[185:186], v[123:124], s[28:29]
	v_mul_f64 v[213:214], v[155:156], s[28:29]
	s_mov_b32 s29, 0xbfe14ced
	v_fma_f64 v[225:226], v[125:126], s[16:17], -v[187:188]
	v_add_f64 v[177:178], v[70:71], v[177:178]
	v_fma_f64 v[237:238], v[121:122], s[24:25], v[195:196]
	v_mul_f64 v[219:220], v[151:152], s[34:35]
	v_add_f64 v[181:182], v[191:192], v[181:182]
	v_fma_f64 v[227:228], v[119:120], s[26:27], -v[185:186]
	v_mul_f64 v[191:192], v[143:144], s[38:39]
	v_fma_f64 v[185:186], v[119:120], s[26:27], v[185:186]
	v_fma_f64 v[183:184], v[127:128], s[16:17], -v[183:184]
	v_add_f64 v[177:178], v[229:230], v[177:178]
	v_fma_f64 v[187:188], v[125:126], s[16:17], v[187:188]
	v_fma_f64 v[233:234], v[137:138], s[24:25], -v[219:220]
	v_add_f64 v[181:182], v[223:224], v[181:182]
	v_fma_f64 v[223:224], v[115:116], s[16:17], v[215:216]
	v_add_f64 v[227:228], v[227:228], v[231:232]
	v_fma_f64 v[235:236], v[131:132], s[8:9], -v[191:192]
	v_fma_f64 v[189:190], v[135:136], s[8:9], -v[189:190]
	v_add_f64 v[177:178], v[183:184], v[177:178]
	v_fma_f64 v[183:184], v[131:132], s[8:9], v[191:192]
	v_mul_f64 v[191:192], v[155:156], s[38:39]
	v_add_f64 v[179:180], v[179:180], v[181:182]
	v_add_f64 v[181:182], v[68:69], v[221:222]
	v_mul_f64 v[221:222], v[141:142], s[28:29]
	v_add_f64 v[223:224], v[70:71], v[223:224]
	v_add_f64 v[225:226], v[225:226], v[227:228]
	v_mul_f64 v[227:228], v[117:118], s[22:23]
	v_fma_f64 v[217:218], v[139:140], s[24:25], -v[217:218]
	v_add_f64 v[189:190], v[189:190], v[177:178]
	v_fma_f64 v[219:220], v[137:138], s[24:25], v[219:220]
	v_add_f64 v[181:182], v[185:186], v[181:182]
	v_mul_f64 v[185:186], v[147:148], s[30:31]
	v_fma_f64 v[229:230], v[127:128], s[26:27], v[221:222]
	v_add_f64 v[223:224], v[237:238], v[223:224]
	v_add_f64 v[225:226], v[235:236], v[225:226]
	v_fma_f64 v[215:216], v[115:116], s[16:17], -v[215:216]
	v_mul_f64 v[235:236], v[149:150], s[34:35]
	v_add_f64 v[74:75], v[70:71], v[74:75]
	v_add_f64 v[181:182], v[187:188], v[181:182]
	v_fma_f64 v[187:188], v[135:136], s[20:21], v[185:186]
	v_add_f64 v[72:73], v[68:69], v[72:73]
	v_add_f64 v[223:224], v[229:230], v[223:224]
	;; [unrolled: 1-line block ×3, first 2 shown]
	v_fma_f64 v[225:226], v[113:114], s[16:17], -v[227:228]
	v_fma_f64 v[229:230], v[139:140], s[8:9], v[191:192]
	v_fma_f64 v[227:228], v[113:114], s[16:17], v[227:228]
	v_add_f64 v[181:182], v[183:184], v[181:182]
	v_add_f64 v[183:184], v[217:218], v[189:190]
	v_mul_f64 v[217:218], v[129:130], s[28:29]
	v_add_f64 v[187:188], v[187:188], v[223:224]
	v_mul_f64 v[223:224], v[123:124], s[40:41]
	;; [unrolled: 2-line block ×3, first 2 shown]
	v_fma_f64 v[195:196], v[121:122], s[24:25], -v[195:196]
	v_add_f64 v[181:182], v[219:220], v[181:182]
	v_add_f64 v[215:216], v[70:71], v[215:216]
	v_fma_f64 v[233:234], v[125:126], s[26:27], -v[217:218]
	v_add_f64 v[187:188], v[229:230], v[187:188]
	v_fma_f64 v[219:220], v[119:120], s[24:25], -v[223:224]
	v_mul_f64 v[229:230], v[143:144], s[30:31]
	v_fma_f64 v[223:224], v[119:120], s[24:25], v[223:224]
	v_mul_f64 v[237:238], v[133:134], s[36:37]
	v_fma_f64 v[239:240], v[115:116], s[24:25], v[235:236]
	v_add_f64 v[227:228], v[68:69], v[227:228]
	v_add_f64 v[74:75], v[74:75], v[78:79]
	;; [unrolled: 1-line block ×4, first 2 shown]
	v_mul_f64 v[201:202], v[133:134], s[22:23]
	v_add_f64 v[163:164], v[163:164], -v[197:198]
	v_mul_f64 v[189:190], v[151:152], s[38:39]
	v_fma_f64 v[225:226], v[131:132], s[20:21], -v[229:230]
	v_fma_f64 v[221:222], v[127:128], s[26:27], -v[221:222]
	v_add_f64 v[195:196], v[195:196], v[215:216]
	v_fma_f64 v[217:218], v[125:126], s[26:27], v[217:218]
	v_add_f64 v[215:216], v[233:234], v[219:220]
	v_mul_f64 v[219:220], v[141:142], s[38:39]
	v_fma_f64 v[233:234], v[121:122], s[20:21], v[237:238]
	v_add_f64 v[239:240], v[70:71], v[239:240]
	v_add_f64 v[223:224], v[223:224], v[227:228]
	;; [unrolled: 1-line block ×4, first 2 shown]
	v_mul_f64 v[193:194], v[113:114], s[8:9]
	v_mul_f64 v[205:206], v[141:142], s[36:37]
	v_add_f64 v[165:166], v[165:166], -v[201:202]
	v_add_f64 v[163:164], v[70:71], v[163:164]
	v_fma_f64 v[231:232], v[137:138], s[8:9], -v[189:190]
	v_fma_f64 v[185:186], v[135:136], s[20:21], -v[185:186]
	v_add_f64 v[195:196], v[221:222], v[195:196]
	v_add_f64 v[215:216], v[225:226], v[215:216]
	v_fma_f64 v[221:222], v[131:132], s[20:21], v[229:230]
	v_mul_f64 v[225:226], v[147:148], s[28:29]
	v_fma_f64 v[227:228], v[127:128], s[8:9], v[219:220]
	v_add_f64 v[229:230], v[233:234], v[239:240]
	v_add_f64 v[217:218], v[217:218], v[223:224]
	;; [unrolled: 1-line block ×4, first 2 shown]
	v_mul_f64 v[199:200], v[119:120], s[16:17]
	v_mul_f64 v[209:210], v[147:148], s[40:41]
	v_add_f64 v[167:168], v[167:168], -v[205:206]
	v_add_f64 v[193:194], v[193:194], v[159:160]
	v_add_f64 v[163:164], v[165:166], v[163:164]
	v_mul_f64 v[149:150], v[149:150], s[28:29]
	v_mul_f64 v[84:85], v[117:118], s[28:29]
	v_add_f64 v[195:196], v[185:186], v[195:196]
	v_fma_f64 v[189:190], v[137:138], s[8:9], v[189:190]
	v_fma_f64 v[233:234], v[135:136], s[26:27], v[225:226]
	v_mul_f64 v[239:240], v[117:118], s[34:35]
	v_add_f64 v[227:228], v[227:228], v[229:230]
	v_add_f64 v[217:218], v[221:222], v[217:218]
	;; [unrolled: 1-line block ×3, first 2 shown]
	v_fma_f64 v[215:216], v[115:116], s[24:25], -v[235:236]
	v_add_f64 v[74:75], v[74:75], v[94:95]
	v_add_f64 v[76:77], v[76:77], v[92:93]
	v_mul_f64 v[203:204], v[125:126], s[20:21]
	v_add_f64 v[169:170], v[169:170], -v[209:210]
	v_add_f64 v[161:162], v[199:200], v[161:162]
	v_add_f64 v[193:194], v[68:69], v[193:194]
	;; [unrolled: 1-line block ×3, first 2 shown]
	v_add_f64 v[167:168], v[171:172], -v[213:214]
	v_mul_f64 v[133:134], v[133:134], s[10:11]
	v_fma_f64 v[171:172], v[115:116], s[26:27], v[149:150]
	v_fma_f64 v[115:116], v[115:116], s[26:27], -v[149:150]
	v_mul_f64 v[117:118], v[123:124], s[10:11]
	v_fma_f64 v[92:93], v[113:114], s[26:27], v[84:85]
	v_fma_f64 v[191:192], v[139:140], s[8:9], -v[191:192]
	v_mul_f64 v[223:224], v[155:156], s[22:23]
	v_mul_f64 v[221:222], v[123:124], s[36:37]
	v_add_f64 v[227:228], v[233:234], v[227:228]
	v_add_f64 v[189:190], v[189:190], v[217:218]
	v_fma_f64 v[217:218], v[121:122], s[20:21], -v[237:238]
	v_add_f64 v[215:216], v[70:71], v[215:216]
	v_fma_f64 v[233:234], v[113:114], s[24:25], v[239:240]
	v_fma_f64 v[229:230], v[113:114], s[24:25], -v[239:240]
	v_fma_f64 v[84:85], v[113:114], s[26:27], -v[84:85]
	v_add_f64 v[74:75], v[74:75], v[98:99]
	v_add_f64 v[76:77], v[76:77], v[96:97]
	v_mul_f64 v[207:208], v[131:132], s[24:25]
	v_add_f64 v[145:146], v[203:204], v[145:146]
	v_add_f64 v[161:162], v[161:162], v[193:194]
	;; [unrolled: 1-line block ×3, first 2 shown]
	v_mul_f64 v[141:142], v[141:142], s[34:35]
	v_fma_f64 v[78:79], v[121:122], s[8:9], v[133:134]
	v_add_f64 v[169:170], v[70:71], v[171:172]
	v_mul_f64 v[94:95], v[129:130], s[34:35]
	v_fma_f64 v[113:114], v[121:122], s[8:9], -v[133:134]
	v_add_f64 v[70:71], v[70:71], v[115:116]
	v_fma_f64 v[115:116], v[119:120], s[8:9], v[117:118]
	v_add_f64 v[92:93], v[68:69], v[92:93]
	v_add_f64 v[191:192], v[191:192], v[195:196]
	v_fma_f64 v[195:196], v[139:140], s[16:17], v[223:224]
	v_mul_f64 v[231:232], v[129:130], s[38:39]
	v_fma_f64 v[235:236], v[119:120], s[20:21], -v[221:222]
	v_fma_f64 v[219:220], v[127:128], s[8:9], -v[219:220]
	v_add_f64 v[215:216], v[217:218], v[215:216]
	v_fma_f64 v[217:218], v[119:120], s[20:21], v[221:222]
	v_add_f64 v[221:222], v[68:69], v[233:234]
	v_add_f64 v[229:230], v[68:69], v[229:230]
	v_fma_f64 v[96:97], v[119:120], s[8:9], -v[117:118]
	v_add_f64 v[68:69], v[68:69], v[84:85]
	v_add_f64 v[74:75], v[74:75], v[102:103]
	;; [unrolled: 1-line block ×5, first 2 shown]
	v_mul_f64 v[147:148], v[147:148], s[22:23]
	v_fma_f64 v[80:81], v[127:128], s[24:25], v[141:142]
	v_add_f64 v[78:79], v[78:79], v[169:170]
	v_mul_f64 v[86:87], v[143:144], s[22:23]
	v_fma_f64 v[84:85], v[127:128], s[24:25], -v[141:142]
	v_add_f64 v[70:71], v[113:114], v[70:71]
	v_fma_f64 v[98:99], v[125:126], s[24:25], v[94:95]
	v_add_f64 v[92:93], v[115:116], v[92:93]
	v_add_f64 v[195:196], v[195:196], v[227:228]
	v_mul_f64 v[227:228], v[143:144], s[28:29]
	v_fma_f64 v[225:226], v[135:136], s[26:27], -v[225:226]
	v_add_f64 v[197:198], v[219:220], v[215:216]
	v_fma_f64 v[215:216], v[125:126], s[8:9], v[231:232]
	v_add_f64 v[217:218], v[217:218], v[221:222]
	v_fma_f64 v[94:95], v[125:126], s[24:25], -v[94:95]
	v_add_f64 v[68:69], v[96:97], v[68:69]
	v_fma_f64 v[233:234], v[125:126], s[8:9], -v[231:232]
	v_add_f64 v[229:230], v[235:236], v[229:230]
	v_add_f64 v[74:75], v[74:75], v[106:107]
	;; [unrolled: 1-line block ×4, first 2 shown]
	v_mul_f64 v[153:154], v[155:156], s[30:31]
	v_add_f64 v[78:79], v[80:81], v[78:79]
	v_mul_f64 v[80:81], v[151:152], s[30:31]
	v_fma_f64 v[96:97], v[135:136], s[16:17], -v[147:148]
	v_add_f64 v[70:71], v[84:85], v[70:71]
	v_fma_f64 v[84:85], v[131:132], s[16:17], v[86:87]
	v_add_f64 v[92:93], v[98:99], v[92:93]
	v_mul_f64 v[211:212], v[137:138], s[26:27]
	v_mul_f64 v[235:236], v[151:152], s[22:23]
	v_fma_f64 v[223:224], v[139:140], s[16:17], -v[223:224]
	v_add_f64 v[197:198], v[225:226], v[197:198]
	v_fma_f64 v[201:202], v[131:132], s[26:27], v[227:228]
	v_add_f64 v[215:216], v[215:216], v[217:218]
	v_fma_f64 v[155:156], v[135:136], s[16:17], v[147:148]
	v_fma_f64 v[86:87], v[131:132], s[16:17], -v[86:87]
	v_add_f64 v[68:69], v[94:95], v[68:69]
	v_fma_f64 v[219:220], v[131:132], s[26:27], -v[227:228]
	v_add_f64 v[221:222], v[233:234], v[229:230]
	v_add_f64 v[74:75], v[74:75], v[110:111]
	;; [unrolled: 1-line block ×3, first 2 shown]
	v_fma_f64 v[94:95], v[139:140], s[20:21], -v[153:154]
	v_add_f64 v[70:71], v[96:97], v[70:71]
	v_fma_f64 v[96:97], v[137:138], s[20:21], v[80:81]
	v_add_f64 v[84:85], v[84:85], v[92:93]
	v_add_f64 v[82:83], v[211:212], v[157:158]
	;; [unrolled: 1-line block ×3, first 2 shown]
	v_fma_f64 v[165:166], v[137:138], s[16:17], v[235:236]
	v_add_f64 v[197:198], v[201:202], v[215:216]
	v_fma_f64 v[92:93], v[139:140], s[20:21], v[153:154]
	v_add_f64 v[78:79], v[155:156], v[78:79]
	v_fma_f64 v[100:101], v[137:138], s[20:21], -v[80:81]
	v_add_f64 v[68:69], v[86:87], v[68:69]
	v_fma_f64 v[217:218], v[137:138], s[16:17], -v[235:236]
	v_add_f64 v[219:220], v[219:220], v[221:222]
	v_add_f64 v[2:3], v[74:75], v[2:3]
	;; [unrolled: 1-line block ×10, first 2 shown]
	v_lshlrev_b32_e32 v68, 4, v175
	v_add_f64 v[193:194], v[217:218], v[219:220]
	ds_write_b128 v68, v[0:3]
	ds_write_b128 v68, v[74:77] offset:16
	ds_write_b128 v68, v[70:73] offset:32
	;; [unrolled: 1-line block ×10, first 2 shown]
.LBB0_17:
	s_or_b64 exec, exec, s[18:19]
	s_waitcnt lgkmcnt(0)
	; wave barrier
	s_waitcnt lgkmcnt(0)
	ds_read_b128 v[0:3], v173
	ds_read_b128 v[68:71], v173 offset:880
	ds_read_b128 v[72:75], v173 offset:1760
	;; [unrolled: 1-line block ×5, first 2 shown]
	s_waitcnt lgkmcnt(4)
	v_mul_f64 v[104:105], v[34:35], v[70:71]
	v_mul_f64 v[34:35], v[34:35], v[68:69]
	s_waitcnt lgkmcnt(3)
	v_mul_f64 v[106:107], v[30:31], v[74:75]
	v_mul_f64 v[30:31], v[30:31], v[72:73]
	s_waitcnt lgkmcnt(2)
	v_mul_f64 v[108:109], v[26:27], v[78:79]
	v_mul_f64 v[26:27], v[26:27], v[76:77]
	ds_read_b128 v[92:95], v173 offset:5280
	ds_read_b128 v[96:99], v173 offset:6160
	;; [unrolled: 1-line block ×3, first 2 shown]
	s_mov_b32 s11, 0x3fe491b7
	v_fma_f64 v[68:69], v[32:33], v[68:69], v[104:105]
	v_fma_f64 v[32:33], v[32:33], v[70:71], -v[34:35]
	s_waitcnt lgkmcnt(4)
	v_mul_f64 v[34:35], v[22:23], v[82:83]
	v_mul_f64 v[22:23], v[22:23], v[80:81]
	v_fma_f64 v[70:71], v[28:29], v[72:73], v[106:107]
	v_fma_f64 v[28:29], v[28:29], v[74:75], -v[30:31]
	v_fma_f64 v[30:31], v[24:25], v[76:77], v[108:109]
	v_fma_f64 v[24:25], v[24:25], v[78:79], -v[26:27]
	s_waitcnt lgkmcnt(0)
	v_mul_f64 v[26:27], v[50:51], v[102:103]
	v_mul_f64 v[50:51], v[50:51], v[100:101]
	v_fma_f64 v[72:73], v[20:21], v[80:81], v[34:35]
	v_fma_f64 v[74:75], v[20:21], v[82:83], -v[22:23]
	v_mul_f64 v[20:21], v[46:47], v[98:99]
	v_mul_f64 v[22:23], v[46:47], v[96:97]
	;; [unrolled: 1-line block ×4, first 2 shown]
	v_fma_f64 v[26:27], v[48:49], v[100:101], v[26:27]
	v_fma_f64 v[46:47], v[48:49], v[102:103], -v[50:51]
	v_mul_f64 v[48:49], v[38:39], v[94:95]
	v_mul_f64 v[38:39], v[38:39], v[92:93]
	v_fma_f64 v[20:21], v[44:45], v[96:97], v[20:21]
	v_fma_f64 v[22:23], v[44:45], v[98:99], -v[22:23]
	v_fma_f64 v[44:45], v[40:41], v[84:85], v[34:35]
	v_fma_f64 v[40:41], v[40:41], v[86:87], -v[42:43]
	v_add_f64 v[42:43], v[68:69], -v[26:27]
	s_mov_b32 s10, 0x523c161c
	v_add_f64 v[50:51], v[32:33], -v[46:47]
	v_fma_f64 v[34:35], v[36:37], v[92:93], v[48:49]
	v_fma_f64 v[36:37], v[36:37], v[94:95], -v[38:39]
	v_add_f64 v[48:49], v[70:71], -v[20:21]
	s_mov_b32 s18, 0x8c811c17
	s_mov_b32 s19, 0x3fef838b
	v_mul_f64 v[38:39], v[42:43], s[10:11]
	v_add_f64 v[76:77], v[28:29], -v[22:23]
	v_mul_f64 v[78:79], v[50:51], s[10:11]
	v_add_f64 v[26:27], v[68:69], v[26:27]
	v_add_f64 v[46:47], v[32:33], v[46:47]
	v_add_f64 v[68:69], v[30:31], -v[34:35]
	s_mov_b32 s8, 0xe8584cab
	s_mov_b32 s20, 0xa2cf5039
	v_fma_f64 v[32:33], v[48:49], s[18:19], v[38:39]
	s_mov_b32 s9, 0x3febb67a
	s_mov_b32 s21, 0x3fe8836f
	v_add_f64 v[80:81], v[24:25], -v[36:37]
	v_fma_f64 v[38:39], v[76:77], s[18:19], v[78:79]
	v_add_f64 v[70:71], v[70:71], v[20:21]
	v_add_f64 v[28:29], v[28:29], v[22:23]
	;; [unrolled: 1-line block ×3, first 2 shown]
	v_fma_f64 v[20:21], v[68:69], s[8:9], v[32:33]
	v_add_f64 v[78:79], v[72:73], -v[44:45]
	v_add_f64 v[82:83], v[74:75], -v[40:41]
	v_fma_f64 v[32:33], v[26:27], s[20:21], v[0:1]
	v_fma_f64 v[34:35], v[46:47], s[20:21], v[2:3]
	v_add_f64 v[84:85], v[72:73], v[44:45]
	v_add_f64 v[86:87], v[74:75], v[40:41]
	s_mov_b32 s16, 0x748a0bf8
	s_mov_b32 s22, 0x7e0b738b
	;; [unrolled: 1-line block ×5, first 2 shown]
	v_add_f64 v[24:25], v[24:25], v[36:37]
	v_fma_f64 v[22:23], v[80:81], s[8:9], v[38:39]
	v_fma_f64 v[36:37], v[78:79], s[16:17], v[20:21]
	;; [unrolled: 1-line block ×4, first 2 shown]
	v_mul_f64 v[34:35], v[78:79], s[10:11]
	v_mul_f64 v[38:39], v[82:83], s[10:11]
	v_fma_f64 v[92:93], v[84:85], s[20:21], v[0:1]
	v_fma_f64 v[94:95], v[86:87], s[20:21], v[2:3]
	s_mov_b32 s24, 0x42522d1b
	s_mov_b32 s25, 0xbfee11f6
	v_fma_f64 v[20:21], v[30:31], -0.5, v[20:21]
	v_fma_f64 v[32:33], v[24:25], -0.5, v[32:33]
	v_fma_f64 v[34:35], v[42:43], s[18:19], v[34:35]
	v_fma_f64 v[38:39], v[50:51], s[18:19], v[38:39]
	;; [unrolled: 1-line block ×4, first 2 shown]
	s_mov_b32 s27, 0xbfebb67a
	s_mov_b32 s26, s8
	v_fma_f64 v[22:23], v[82:83], s[16:17], v[22:23]
	v_fma_f64 v[20:21], v[84:85], s[24:25], v[20:21]
	;; [unrolled: 1-line block ×5, first 2 shown]
	v_fma_f64 v[92:93], v[30:31], -0.5, v[92:93]
	v_fma_f64 v[94:95], v[24:25], -0.5, v[94:95]
	v_add_f64 v[100:101], v[82:83], v[50:51]
	v_mul_f64 v[82:83], v[82:83], s[18:19]
	v_add_f64 v[32:33], v[20:21], -v[22:23]
	v_add_f64 v[34:35], v[36:37], v[96:97]
	v_fma_f64 v[96:97], v[48:49], s[16:17], v[98:99]
	v_fma_f64 v[98:99], v[76:77], s[16:17], v[38:39]
	;; [unrolled: 1-line block ×4, first 2 shown]
	v_add_f64 v[94:95], v[78:79], v[42:43]
	v_mul_f64 v[78:79], v[78:79], s[18:19]
	v_fma_f64 v[20:21], v[22:23], 2.0, v[32:33]
	v_fma_f64 v[22:23], v[36:37], -2.0, v[34:35]
	v_fma_f64 v[102:103], v[28:29], s[20:21], v[2:3]
	v_add_f64 v[28:29], v[28:29], v[46:47]
	v_add_f64 v[36:37], v[38:39], -v[98:99]
	v_add_f64 v[38:39], v[96:97], v[92:93]
	v_add_f64 v[92:93], v[94:95], -v[48:49]
	v_add_f64 v[94:95], v[100:101], -v[76:77]
	v_fma_f64 v[100:101], v[70:71], s[20:21], v[0:1]
	v_add_f64 v[70:71], v[70:71], v[26:27]
	v_fma_f64 v[48:49], v[48:49], s[10:11], -v[78:79]
	v_fma_f64 v[76:77], v[76:77], s[10:11], -v[82:83]
	v_fma_f64 v[82:83], v[86:87], s[22:23], v[102:103]
	v_add_f64 v[104:105], v[0:1], v[30:31]
	v_add_f64 v[106:107], v[2:3], v[24:25]
	v_fma_f64 v[78:79], v[84:85], s[22:23], v[100:101]
	v_add_f64 v[84:85], v[84:85], v[70:71]
	v_add_f64 v[70:71], v[30:31], v[70:71]
	;; [unrolled: 1-line block ×3, first 2 shown]
	v_fma_f64 v[48:49], v[68:69], s[8:9], v[48:49]
	v_fma_f64 v[68:69], v[80:81], s[8:9], v[76:77]
	v_fma_f64 v[24:25], v[24:25], -0.5, v[82:83]
	v_add_f64 v[28:29], v[86:87], v[28:29]
	v_fma_f64 v[30:31], v[30:31], -0.5, v[78:79]
	v_fma_f64 v[76:77], v[84:85], -0.5, v[104:105]
	v_add_f64 v[70:71], v[72:73], v[70:71]
	v_add_f64 v[72:73], v[74:75], v[100:101]
	v_fma_f64 v[74:75], v[42:43], s[16:17], v[48:49]
	v_fma_f64 v[68:69], v[50:51], s[16:17], v[68:69]
	;; [unrolled: 1-line block ×3, first 2 shown]
	v_fma_f64 v[28:29], v[28:29], -0.5, v[106:107]
	v_fma_f64 v[26:27], v[26:27], s[24:25], v[30:31]
	v_mul_f64 v[78:79], v[92:93], s[8:9]
	v_add_f64 v[30:31], v[44:45], v[70:71]
	v_add_f64 v[50:51], v[40:41], v[72:73]
	v_mul_f64 v[70:71], v[94:95], s[8:9]
	v_fma_f64 v[40:41], v[94:95], s[26:27], v[76:77]
	v_add_f64 v[46:47], v[74:75], v[24:25]
	v_fma_f64 v[42:43], v[92:93], s[8:9], v[28:29]
	v_add_f64 v[44:45], v[26:27], -v[68:69]
	v_fma_f64 v[28:29], v[98:99], 2.0, v[36:37]
	v_add_f64 v[48:49], v[0:1], v[30:31]
	v_add_f64 v[50:51], v[2:3], v[50:51]
	v_fma_f64 v[30:31], v[96:97], -2.0, v[38:39]
	v_fma_f64 v[24:25], v[70:71], 2.0, v[40:41]
	v_fma_f64 v[2:3], v[74:75], -2.0, v[46:47]
	v_fma_f64 v[26:27], v[78:79], -2.0, v[42:43]
	v_fma_f64 v[0:1], v[68:69], 2.0, v[44:45]
	; wave barrier
	ds_write_b128 v176, v[48:51]
	ds_write_b128 v176, v[32:35] offset:176
	ds_write_b128 v176, v[36:39] offset:352
	;; [unrolled: 1-line block ×8, first 2 shown]
	s_waitcnt lgkmcnt(0)
	; wave barrier
	s_waitcnt lgkmcnt(0)
	ds_read_b128 v[32:35], v173
	ds_read_b128 v[48:51], v173 offset:1584
	ds_read_b128 v[36:39], v173 offset:3168
	ds_read_b128 v[40:43], v173 offset:4752
	ds_read_b128 v[44:47], v173 offset:6336
	s_and_saveexec_b64 s[8:9], s[2:3]
	s_cbranch_execz .LBB0_19
; %bb.18:
	ds_read_b128 v[0:3], v173 offset:880
	ds_read_b128 v[24:27], v173 offset:2464
	;; [unrolled: 1-line block ×5, first 2 shown]
.LBB0_19:
	s_or_b64 exec, exec, s[8:9]
	s_waitcnt lgkmcnt(2)
	v_mul_f64 v[68:69], v[62:63], v[38:39]
	s_waitcnt lgkmcnt(1)
	v_mul_f64 v[70:71], v[58:59], v[42:43]
	v_mul_f64 v[72:73], v[66:67], v[50:51]
	;; [unrolled: 1-line block ×4, first 2 shown]
	s_waitcnt lgkmcnt(0)
	v_mul_f64 v[74:75], v[54:55], v[44:45]
	s_mov_b32 s8, 0x134454ff
	s_mov_b32 s9, 0xbfee6f0e
	v_fma_f64 v[68:69], v[60:61], v[36:37], v[68:69]
	v_fma_f64 v[70:71], v[56:57], v[40:41], v[70:71]
	v_mul_f64 v[36:37], v[58:59], v[40:41]
	v_mul_f64 v[40:41], v[54:55], v[46:47]
	v_fma_f64 v[48:49], v[64:65], v[48:49], v[72:73]
	v_fma_f64 v[50:51], v[64:65], v[50:51], -v[66:67]
	v_fma_f64 v[46:47], v[52:53], v[46:47], -v[74:75]
	;; [unrolled: 1-line block ×3, first 2 shown]
	s_mov_b32 s19, 0x3fee6f0e
	v_add_f64 v[54:55], v[68:69], v[70:71]
	v_fma_f64 v[42:43], v[56:57], v[42:43], -v[36:37]
	v_fma_f64 v[40:41], v[52:53], v[44:45], v[40:41]
	v_add_f64 v[36:37], v[32:33], v[48:49]
	v_add_f64 v[56:57], v[48:49], -v[68:69]
	v_add_f64 v[44:45], v[50:51], -v[46:47]
	s_mov_b32 s18, s8
	v_add_f64 v[72:73], v[50:51], v[46:47]
	v_fma_f64 v[52:53], v[54:55], -0.5, v[32:33]
	v_add_f64 v[54:55], v[38:39], -v[42:43]
	v_add_f64 v[58:59], v[40:41], -v[70:71]
	v_add_f64 v[60:61], v[48:49], v[40:41]
	v_add_f64 v[36:37], v[36:37], v[68:69]
	s_mov_b32 s10, 0x4755a5e
	s_mov_b32 s11, 0xbfe2cf23
	v_add_f64 v[66:67], v[34:35], v[50:51]
	v_fma_f64 v[62:63], v[44:45], s[8:9], v[52:53]
	v_fma_f64 v[52:53], v[44:45], s[18:19], v[52:53]
	v_add_f64 v[56:57], v[56:57], v[58:59]
	v_fma_f64 v[58:59], v[60:61], -0.5, v[32:33]
	v_add_f64 v[32:33], v[36:37], v[70:71]
	v_add_f64 v[60:61], v[38:39], v[42:43]
	s_mov_b32 s21, 0x3fe2cf23
	s_mov_b32 s20, s10
	v_add_f64 v[64:65], v[68:69], -v[48:49]
	v_fma_f64 v[36:37], v[54:55], s[10:11], v[62:63]
	v_add_f64 v[62:63], v[70:71], -v[40:41]
	v_fma_f64 v[74:75], v[54:55], s[18:19], v[58:59]
	v_add_f64 v[32:33], v[32:33], v[40:41]
	v_fma_f64 v[60:61], v[60:61], -0.5, v[34:35]
	v_add_f64 v[40:41], v[48:49], -v[40:41]
	v_fma_f64 v[48:49], v[54:55], s[20:21], v[52:53]
	v_add_f64 v[52:53], v[68:69], -v[70:71]
	v_fma_f64 v[34:35], v[72:73], -0.5, v[34:35]
	v_fma_f64 v[54:55], v[54:55], s[8:9], v[58:59]
	v_add_f64 v[58:59], v[66:67], v[38:39]
	v_add_f64 v[62:63], v[64:65], v[62:63]
	v_add_f64 v[66:67], v[50:51], -v[38:39]
	v_fma_f64 v[64:65], v[40:41], s[18:19], v[60:61]
	v_add_f64 v[70:71], v[46:47], -v[42:43]
	v_add_f64 v[38:39], v[38:39], -v[50:51]
	v_fma_f64 v[72:73], v[52:53], s[8:9], v[34:35]
	v_add_f64 v[50:51], v[42:43], -v[46:47]
	v_fma_f64 v[34:35], v[52:53], s[18:19], v[34:35]
	v_fma_f64 v[60:61], v[40:41], s[8:9], v[60:61]
	v_add_f64 v[42:43], v[58:59], v[42:43]
	v_fma_f64 v[58:59], v[52:53], s[20:21], v[64:65]
	v_add_f64 v[64:65], v[66:67], v[70:71]
	v_fma_f64 v[68:69], v[44:45], s[10:11], v[74:75]
	v_fma_f64 v[66:67], v[40:41], s[20:21], v[72:73]
	v_add_f64 v[50:51], v[38:39], v[50:51]
	v_fma_f64 v[54:55], v[44:45], s[20:21], v[54:55]
	v_fma_f64 v[70:71], v[40:41], s[10:11], v[34:35]
	;; [unrolled: 1-line block ×3, first 2 shown]
	s_mov_b32 s16, 0x372fe950
	s_mov_b32 s17, 0x3fd3c6ef
	v_add_f64 v[34:35], v[42:43], v[46:47]
	v_fma_f64 v[36:37], v[56:57], s[16:17], v[36:37]
	v_fma_f64 v[38:39], v[64:65], s[16:17], v[58:59]
	;; [unrolled: 1-line block ×8, first 2 shown]
	ds_write_b128 v173, v[32:35]
	ds_write_b128 v173, v[36:39] offset:1584
	ds_write_b128 v173, v[44:47] offset:3168
	ds_write_b128 v173, v[48:51] offset:4752
	ds_write_b128 v173, v[40:43] offset:6336
	s_and_saveexec_b64 s[22:23], s[2:3]
	s_cbranch_execz .LBB0_21
; %bb.20:
	v_mul_f64 v[32:33], v[18:19], v[28:29]
	v_mul_f64 v[34:35], v[6:7], v[24:25]
	;; [unrolled: 1-line block ×8, first 2 shown]
	v_fma_f64 v[30:31], v[16:17], v[30:31], -v[32:33]
	v_fma_f64 v[26:27], v[4:5], v[26:27], -v[34:35]
	;; [unrolled: 1-line block ×4, first 2 shown]
	v_fma_f64 v[16:17], v[16:17], v[28:29], v[18:19]
	v_fma_f64 v[12:13], v[12:13], v[20:21], v[14:15]
	;; [unrolled: 1-line block ×4, first 2 shown]
	v_add_f64 v[10:11], v[30:31], -v[26:27]
	v_add_f64 v[6:7], v[26:27], v[32:33]
	v_add_f64 v[24:25], v[30:31], v[22:23]
	v_add_f64 v[14:15], v[22:23], -v[32:33]
	v_add_f64 v[18:19], v[16:17], -v[12:13]
	v_add_f64 v[36:37], v[2:3], v[26:27]
	v_add_f64 v[20:21], v[4:5], -v[8:9]
	v_add_f64 v[46:47], v[16:17], v[12:13]
	v_add_f64 v[28:29], v[26:27], -v[30:31]
	v_fma_f64 v[6:7], v[6:7], -0.5, v[2:3]
	v_fma_f64 v[2:3], v[24:25], -0.5, v[2:3]
	v_add_f64 v[24:25], v[4:5], v[8:9]
	v_add_f64 v[34:35], v[32:33], -v[22:23]
	v_add_f64 v[48:49], v[0:1], v[4:5]
	v_add_f64 v[10:11], v[10:11], v[14:15]
	v_add_f64 v[26:27], v[26:27], -v[32:33]
	v_add_f64 v[44:45], v[30:31], -v[22:23]
	v_fma_f64 v[42:43], v[18:19], s[18:19], v[6:7]
	v_fma_f64 v[6:7], v[18:19], s[8:9], v[6:7]
	;; [unrolled: 1-line block ×4, first 2 shown]
	v_fma_f64 v[24:25], v[24:25], -0.5, v[0:1]
	v_fma_f64 v[0:1], v[46:47], -0.5, v[0:1]
	v_add_f64 v[38:39], v[16:17], -v[4:5]
	v_add_f64 v[4:5], v[4:5], -v[16:17]
	v_fma_f64 v[42:43], v[20:21], s[10:11], v[42:43]
	v_fma_f64 v[6:7], v[20:21], s[20:21], v[6:7]
	v_add_f64 v[20:21], v[28:29], v[34:35]
	v_add_f64 v[28:29], v[36:37], v[30:31]
	v_fma_f64 v[14:15], v[18:19], s[10:11], v[14:15]
	v_fma_f64 v[18:19], v[18:19], s[20:21], v[2:3]
	v_add_f64 v[16:17], v[48:49], v[16:17]
	v_fma_f64 v[30:31], v[26:27], s[8:9], v[0:1]
	v_fma_f64 v[2:3], v[10:11], s[16:17], v[42:43]
	;; [unrolled: 1-line block ×3, first 2 shown]
	v_add_f64 v[10:11], v[8:9], -v[12:13]
	v_add_f64 v[40:41], v[12:13], -v[8:9]
	v_fma_f64 v[34:35], v[44:45], s[18:19], v[24:25]
	v_fma_f64 v[24:25], v[44:45], s[8:9], v[24:25]
	;; [unrolled: 1-line block ×3, first 2 shown]
	v_add_f64 v[22:23], v[28:29], v[22:23]
	v_add_f64 v[36:37], v[4:5], v[10:11]
	;; [unrolled: 1-line block ×3, first 2 shown]
	v_fma_f64 v[12:13], v[44:45], s[10:11], v[30:31]
	v_add_f64 v[28:29], v[38:39], v[40:41]
	v_fma_f64 v[30:31], v[26:27], s[10:11], v[34:35]
	v_fma_f64 v[24:25], v[26:27], s[20:21], v[24:25]
	;; [unrolled: 1-line block ×5, first 2 shown]
	v_add_f64 v[18:19], v[22:23], v[32:33]
	v_add_f64 v[16:17], v[4:5], v[8:9]
	v_fma_f64 v[12:13], v[36:37], s[16:17], v[12:13]
	v_fma_f64 v[4:5], v[28:29], s[16:17], v[30:31]
	;; [unrolled: 1-line block ×4, first 2 shown]
	ds_write_b128 v173, v[16:19] offset:880
	ds_write_b128 v173, v[12:15] offset:2464
	;; [unrolled: 1-line block ×5, first 2 shown]
.LBB0_21:
	s_or_b64 exec, exec, s[22:23]
	s_waitcnt lgkmcnt(0)
	; wave barrier
	s_waitcnt lgkmcnt(0)
	s_and_b64 exec, exec, s[0:1]
	s_cbranch_execz .LBB0_23
; %bb.22:
	global_load_dwordx4 v[0:3], v173, s[14:15]
	global_load_dwordx4 v[4:7], v173, s[14:15] offset:720
	global_load_dwordx4 v[8:11], v173, s[14:15] offset:1440
	;; [unrolled: 1-line block ×4, first 2 shown]
	ds_read_b128 v[20:23], v173
	ds_read_b128 v[24:27], v173 offset:720
	ds_read_b128 v[28:31], v173 offset:1440
	;; [unrolled: 1-line block ×3, first 2 shown]
	global_load_dwordx4 v[36:39], v173, s[14:15] offset:3600
	v_mov_b32_e32 v52, s15
	v_mad_u64_u32 v[74:75], s[2:3], s4, v174, 0
	v_add_co_u32_e32 v53, vcc, s14, v173
	v_mad_u64_u32 v[72:73], s[0:1], s6, v112, 0
	s_mul_hi_u32 s6, s4, 0x2d0
	s_mul_i32 s2, s4, 0x2d0
	s_movk_i32 s4, 0x1000
	v_addc_co_u32_e32 v52, vcc, 0, v52, vcc
	v_add_co_u32_e32 v76, vcc, s4, v53
	v_addc_co_u32_e32 v77, vcc, 0, v52, vcc
	ds_read_b128 v[40:43], v173 offset:2880
	ds_read_b128 v[44:47], v173 offset:3600
	global_load_dwordx4 v[52:55], v[76:77], off offset:224
	global_load_dwordx4 v[56:59], v[76:77], off offset:944
	s_mul_i32 s3, s5, 0x2d0
	v_mov_b32_e32 v60, v73
	v_mov_b32_e32 v61, v75
	s_add_i32 s3, s6, s3
	v_mad_u64_u32 v[78:79], s[6:7], s7, v112, v[60:61]
	ds_read_b128 v[48:51], v173 offset:7200
	v_mad_u64_u32 v[79:80], s[4:5], s5, v174, v[61:62]
	global_load_dwordx4 v[60:63], v[76:77], off offset:1664
	global_load_dwordx4 v[64:67], v[76:77], off offset:2384
	;; [unrolled: 1-line block ×3, first 2 shown]
	v_mov_b32_e32 v73, v78
	v_lshlrev_b64 v[72:73], 4, v[72:73]
	v_mov_b32_e32 v75, v79
	v_mov_b32_e32 v81, s13
	v_lshlrev_b64 v[74:75], 4, v[74:75]
	v_add_co_u32_e32 v72, vcc, s12, v72
	v_addc_co_u32_e32 v73, vcc, v81, v73, vcc
	v_add_co_u32_e32 v72, vcc, v72, v74
	v_addc_co_u32_e32 v73, vcc, v73, v75, vcc
	v_mov_b32_e32 v82, s3
	v_add_co_u32_e32 v74, vcc, s2, v72
	v_addc_co_u32_e32 v75, vcc, v73, v82, vcc
	v_mov_b32_e32 v83, s3
	v_add_co_u32_e32 v76, vcc, s2, v74
	v_addc_co_u32_e32 v77, vcc, v75, v83, vcc
	v_mov_b32_e32 v84, s3
	v_add_co_u32_e32 v78, vcc, s2, v76
	v_addc_co_u32_e32 v79, vcc, v77, v84, vcc
	s_mov_b32 s0, 0xb37565e2
	s_mov_b32 s1, 0x3f608cab
	s_waitcnt vmcnt(10) lgkmcnt(6)
	v_mul_f64 v[80:81], v[22:23], v[2:3]
	v_mul_f64 v[2:3], v[20:21], v[2:3]
	s_waitcnt vmcnt(9) lgkmcnt(5)
	v_mul_f64 v[82:83], v[26:27], v[6:7]
	v_mul_f64 v[6:7], v[24:25], v[6:7]
	;; [unrolled: 3-line block ×4, first 2 shown]
	v_fma_f64 v[20:21], v[20:21], v[0:1], v[80:81]
	v_fma_f64 v[2:3], v[0:1], v[22:23], -v[2:3]
	v_fma_f64 v[22:23], v[24:25], v[4:5], v[82:83]
	v_fma_f64 v[6:7], v[4:5], v[26:27], -v[6:7]
	;; [unrolled: 2-line block ×4, first 2 shown]
	s_waitcnt vmcnt(6) lgkmcnt(2)
	v_mul_f64 v[88:89], v[42:43], v[18:19]
	v_mul_f64 v[18:19], v[40:41], v[18:19]
	;; [unrolled: 1-line block ×10, first 2 shown]
	v_fma_f64 v[20:21], v[40:41], v[16:17], v[88:89]
	v_fma_f64 v[16:17], v[16:17], v[42:43], -v[18:19]
	s_waitcnt vmcnt(5) lgkmcnt(1)
	v_mul_f64 v[18:19], v[46:47], v[38:39]
	v_mul_f64 v[22:23], v[44:45], v[38:39]
	global_store_dwordx4 v[72:73], v[0:3], off
	global_store_dwordx4 v[74:75], v[4:7], off
	;; [unrolled: 1-line block ×4, first 2 shown]
	ds_read_b128 v[4:7], v173 offset:4320
	ds_read_b128 v[8:11], v173 offset:5040
	v_mul_f64 v[0:1], v[20:21], s[0:1]
	v_mul_f64 v[2:3], v[16:17], s[0:1]
	v_fma_f64 v[12:13], v[44:45], v[36:37], v[18:19]
	v_fma_f64 v[14:15], v[36:37], v[46:47], -v[22:23]
	s_waitcnt vmcnt(8) lgkmcnt(1)
	v_mul_f64 v[16:17], v[6:7], v[54:55]
	v_mul_f64 v[18:19], v[4:5], v[54:55]
	v_mov_b32_e32 v21, s3
	v_add_co_u32_e32 v20, vcc, s2, v78
	v_addc_co_u32_e32 v21, vcc, v79, v21, vcc
	global_store_dwordx4 v[20:21], v[0:3], off
	v_fma_f64 v[4:5], v[4:5], v[52:53], v[16:17]
	v_mul_f64 v[0:1], v[12:13], s[0:1]
	v_mul_f64 v[2:3], v[14:15], s[0:1]
	v_fma_f64 v[6:7], v[52:53], v[6:7], -v[18:19]
	s_waitcnt vmcnt(8) lgkmcnt(0)
	v_mul_f64 v[12:13], v[10:11], v[58:59]
	v_mul_f64 v[14:15], v[8:9], v[58:59]
	v_mov_b32_e32 v22, s3
	v_add_co_u32_e32 v16, vcc, s2, v20
	v_addc_co_u32_e32 v17, vcc, v21, v22, vcc
	global_store_dwordx4 v[16:17], v[0:3], off
	v_fma_f64 v[12:13], v[8:9], v[56:57], v[12:13]
	v_mul_f64 v[0:1], v[4:5], s[0:1]
	v_mul_f64 v[2:3], v[6:7], s[0:1]
	ds_read_b128 v[4:7], v173 offset:5760
	v_fma_f64 v[14:15], v[56:57], v[10:11], -v[14:15]
	ds_read_b128 v[8:11], v173 offset:6480
	v_add_co_u32_e32 v16, vcc, s2, v16
	s_waitcnt vmcnt(8) lgkmcnt(1)
	v_mul_f64 v[18:19], v[6:7], v[62:63]
	v_mul_f64 v[20:21], v[4:5], v[62:63]
	v_addc_co_u32_e32 v17, vcc, v17, v22, vcc
	global_store_dwordx4 v[16:17], v[0:3], off
	v_fma_f64 v[4:5], v[4:5], v[60:61], v[18:19]
	v_mul_f64 v[0:1], v[12:13], s[0:1]
	v_mov_b32_e32 v13, s3
	v_add_co_u32_e32 v12, vcc, s2, v16
	v_mul_f64 v[2:3], v[14:15], s[0:1]
	v_fma_f64 v[6:7], v[60:61], v[6:7], -v[20:21]
	v_addc_co_u32_e32 v13, vcc, v17, v13, vcc
	s_waitcnt vmcnt(8) lgkmcnt(0)
	v_mul_f64 v[14:15], v[10:11], v[66:67]
	v_mul_f64 v[16:17], v[8:9], v[66:67]
	s_waitcnt vmcnt(7)
	v_mul_f64 v[18:19], v[50:51], v[70:71]
	v_mul_f64 v[20:21], v[48:49], v[70:71]
	global_store_dwordx4 v[12:13], v[0:3], off
	v_add_co_u32_e32 v12, vcc, s2, v12
	v_mul_f64 v[0:1], v[4:5], s[0:1]
	v_mul_f64 v[2:3], v[6:7], s[0:1]
	v_fma_f64 v[4:5], v[8:9], v[64:65], v[14:15]
	v_fma_f64 v[6:7], v[64:65], v[10:11], -v[16:17]
	v_fma_f64 v[8:9], v[48:49], v[68:69], v[18:19]
	v_fma_f64 v[10:11], v[68:69], v[50:51], -v[20:21]
	v_addc_co_u32_e32 v13, vcc, v13, v22, vcc
	v_mov_b32_e32 v14, s3
	global_store_dwordx4 v[12:13], v[0:3], off
	s_nop 0
	v_mul_f64 v[0:1], v[4:5], s[0:1]
	v_mul_f64 v[2:3], v[6:7], s[0:1]
	;; [unrolled: 1-line block ×4, first 2 shown]
	v_add_co_u32_e32 v8, vcc, s2, v12
	v_addc_co_u32_e32 v9, vcc, v13, v14, vcc
	global_store_dwordx4 v[8:9], v[0:3], off
	s_nop 0
	v_mov_b32_e32 v1, s3
	v_add_co_u32_e32 v0, vcc, s2, v8
	v_addc_co_u32_e32 v1, vcc, v9, v1, vcc
	global_store_dwordx4 v[0:1], v[4:7], off
.LBB0_23:
	s_endpgm
	.section	.rodata,"a",@progbits
	.p2align	6, 0x0
	.amdhsa_kernel bluestein_single_fwd_len495_dim1_dp_op_CI_CI
		.amdhsa_group_segment_fixed_size 7920
		.amdhsa_private_segment_fixed_size 0
		.amdhsa_kernarg_size 104
		.amdhsa_user_sgpr_count 6
		.amdhsa_user_sgpr_private_segment_buffer 1
		.amdhsa_user_sgpr_dispatch_ptr 0
		.amdhsa_user_sgpr_queue_ptr 0
		.amdhsa_user_sgpr_kernarg_segment_ptr 1
		.amdhsa_user_sgpr_dispatch_id 0
		.amdhsa_user_sgpr_flat_scratch_init 0
		.amdhsa_user_sgpr_private_segment_size 0
		.amdhsa_uses_dynamic_stack 0
		.amdhsa_system_sgpr_private_segment_wavefront_offset 0
		.amdhsa_system_sgpr_workgroup_id_x 1
		.amdhsa_system_sgpr_workgroup_id_y 0
		.amdhsa_system_sgpr_workgroup_id_z 0
		.amdhsa_system_sgpr_workgroup_info 0
		.amdhsa_system_vgpr_workitem_id 0
		.amdhsa_next_free_vgpr 241
		.amdhsa_next_free_sgpr 44
		.amdhsa_reserve_vcc 1
		.amdhsa_reserve_flat_scratch 0
		.amdhsa_float_round_mode_32 0
		.amdhsa_float_round_mode_16_64 0
		.amdhsa_float_denorm_mode_32 3
		.amdhsa_float_denorm_mode_16_64 3
		.amdhsa_dx10_clamp 1
		.amdhsa_ieee_mode 1
		.amdhsa_fp16_overflow 0
		.amdhsa_exception_fp_ieee_invalid_op 0
		.amdhsa_exception_fp_denorm_src 0
		.amdhsa_exception_fp_ieee_div_zero 0
		.amdhsa_exception_fp_ieee_overflow 0
		.amdhsa_exception_fp_ieee_underflow 0
		.amdhsa_exception_fp_ieee_inexact 0
		.amdhsa_exception_int_div_zero 0
	.end_amdhsa_kernel
	.text
.Lfunc_end0:
	.size	bluestein_single_fwd_len495_dim1_dp_op_CI_CI, .Lfunc_end0-bluestein_single_fwd_len495_dim1_dp_op_CI_CI
                                        ; -- End function
	.section	.AMDGPU.csdata,"",@progbits
; Kernel info:
; codeLenInByte = 14592
; NumSgprs: 48
; NumVgprs: 241
; ScratchSize: 0
; MemoryBound: 0
; FloatMode: 240
; IeeeMode: 1
; LDSByteSize: 7920 bytes/workgroup (compile time only)
; SGPRBlocks: 5
; VGPRBlocks: 60
; NumSGPRsForWavesPerEU: 48
; NumVGPRsForWavesPerEU: 241
; Occupancy: 1
; WaveLimiterHint : 1
; COMPUTE_PGM_RSRC2:SCRATCH_EN: 0
; COMPUTE_PGM_RSRC2:USER_SGPR: 6
; COMPUTE_PGM_RSRC2:TRAP_HANDLER: 0
; COMPUTE_PGM_RSRC2:TGID_X_EN: 1
; COMPUTE_PGM_RSRC2:TGID_Y_EN: 0
; COMPUTE_PGM_RSRC2:TGID_Z_EN: 0
; COMPUTE_PGM_RSRC2:TIDIG_COMP_CNT: 0
	.type	__hip_cuid_99c1ef3eab7612f1,@object ; @__hip_cuid_99c1ef3eab7612f1
	.section	.bss,"aw",@nobits
	.globl	__hip_cuid_99c1ef3eab7612f1
__hip_cuid_99c1ef3eab7612f1:
	.byte	0                               ; 0x0
	.size	__hip_cuid_99c1ef3eab7612f1, 1

	.ident	"AMD clang version 19.0.0git (https://github.com/RadeonOpenCompute/llvm-project roc-6.4.0 25133 c7fe45cf4b819c5991fe208aaa96edf142730f1d)"
	.section	".note.GNU-stack","",@progbits
	.addrsig
	.addrsig_sym __hip_cuid_99c1ef3eab7612f1
	.amdgpu_metadata
---
amdhsa.kernels:
  - .args:
      - .actual_access:  read_only
        .address_space:  global
        .offset:         0
        .size:           8
        .value_kind:     global_buffer
      - .actual_access:  read_only
        .address_space:  global
        .offset:         8
        .size:           8
        .value_kind:     global_buffer
      - .actual_access:  read_only
        .address_space:  global
        .offset:         16
        .size:           8
        .value_kind:     global_buffer
      - .actual_access:  read_only
        .address_space:  global
        .offset:         24
        .size:           8
        .value_kind:     global_buffer
      - .actual_access:  read_only
        .address_space:  global
        .offset:         32
        .size:           8
        .value_kind:     global_buffer
      - .offset:         40
        .size:           8
        .value_kind:     by_value
      - .address_space:  global
        .offset:         48
        .size:           8
        .value_kind:     global_buffer
      - .address_space:  global
        .offset:         56
        .size:           8
        .value_kind:     global_buffer
      - .address_space:  global
        .offset:         64
        .size:           8
        .value_kind:     global_buffer
      - .address_space:  global
        .offset:         72
        .size:           8
        .value_kind:     global_buffer
      - .offset:         80
        .size:           4
        .value_kind:     by_value
      - .address_space:  global
        .offset:         88
        .size:           8
        .value_kind:     global_buffer
      - .address_space:  global
        .offset:         96
        .size:           8
        .value_kind:     global_buffer
    .group_segment_fixed_size: 7920
    .kernarg_segment_align: 8
    .kernarg_segment_size: 104
    .language:       OpenCL C
    .language_version:
      - 2
      - 0
    .max_flat_workgroup_size: 55
    .name:           bluestein_single_fwd_len495_dim1_dp_op_CI_CI
    .private_segment_fixed_size: 0
    .sgpr_count:     48
    .sgpr_spill_count: 0
    .symbol:         bluestein_single_fwd_len495_dim1_dp_op_CI_CI.kd
    .uniform_work_group_size: 1
    .uses_dynamic_stack: false
    .vgpr_count:     241
    .vgpr_spill_count: 0
    .wavefront_size: 64
amdhsa.target:   amdgcn-amd-amdhsa--gfx906
amdhsa.version:
  - 1
  - 2
...

	.end_amdgpu_metadata
